;; amdgpu-corpus repo=ROCm/rocFFT kind=compiled arch=gfx1201 opt=O3
	.text
	.amdgcn_target "amdgcn-amd-amdhsa--gfx1201"
	.amdhsa_code_object_version 6
	.protected	fft_rtc_back_len1785_factors_17_3_5_7_wgs_119_tpt_119_halfLds_sp_op_CI_CI_unitstride_sbrr_dirReg ; -- Begin function fft_rtc_back_len1785_factors_17_3_5_7_wgs_119_tpt_119_halfLds_sp_op_CI_CI_unitstride_sbrr_dirReg
	.globl	fft_rtc_back_len1785_factors_17_3_5_7_wgs_119_tpt_119_halfLds_sp_op_CI_CI_unitstride_sbrr_dirReg
	.p2align	8
	.type	fft_rtc_back_len1785_factors_17_3_5_7_wgs_119_tpt_119_halfLds_sp_op_CI_CI_unitstride_sbrr_dirReg,@function
fft_rtc_back_len1785_factors_17_3_5_7_wgs_119_tpt_119_halfLds_sp_op_CI_CI_unitstride_sbrr_dirReg: ; @fft_rtc_back_len1785_factors_17_3_5_7_wgs_119_tpt_119_halfLds_sp_op_CI_CI_unitstride_sbrr_dirReg
; %bb.0:
	s_clause 0x2
	s_load_b128 s[4:7], s[0:1], 0x0
	s_load_b128 s[8:11], s[0:1], 0x58
	;; [unrolled: 1-line block ×3, first 2 shown]
	v_mul_u32_u24_e32 v1, 0x227, v0
	v_dual_mov_b32 v3, 0 :: v_dual_mov_b32 v6, 0
	v_mov_b32_e32 v7, 0
	s_delay_alu instid0(VALU_DEP_3) | instskip(NEXT) | instid1(VALU_DEP_1)
	v_lshrrev_b32_e32 v1, 16, v1
	v_dual_mov_b32 v12, v3 :: v_dual_add_nc_u32 v11, ttmp9, v1
	s_wait_kmcnt 0x0
	v_cmp_lt_u64_e64 s2, s[6:7], 2
	s_delay_alu instid0(VALU_DEP_1)
	s_and_b32 vcc_lo, exec_lo, s2
	s_cbranch_vccnz .LBB0_8
; %bb.1:
	s_load_b64 s[2:3], s[0:1], 0x10
	v_mov_b32_e32 v6, 0
	v_mov_b32_e32 v7, 0
	s_delay_alu instid0(VALU_DEP_2)
	v_mov_b32_e32 v1, v6
	s_add_nc_u64 s[16:17], s[14:15], 8
	s_add_nc_u64 s[18:19], s[12:13], 8
	s_mov_b64 s[20:21], 1
	v_mov_b32_e32 v2, v7
	s_wait_kmcnt 0x0
	s_add_nc_u64 s[22:23], s[2:3], 8
	s_mov_b32 s3, 0
.LBB0_2:                                ; =>This Inner Loop Header: Depth=1
	s_load_b64 s[24:25], s[22:23], 0x0
                                        ; implicit-def: $vgpr9_vgpr10
	s_mov_b32 s2, exec_lo
	s_wait_kmcnt 0x0
	v_or_b32_e32 v4, s25, v12
	s_delay_alu instid0(VALU_DEP_1)
	v_cmpx_ne_u64_e32 0, v[3:4]
	s_wait_alu 0xfffe
	s_xor_b32 s26, exec_lo, s2
	s_cbranch_execz .LBB0_4
; %bb.3:                                ;   in Loop: Header=BB0_2 Depth=1
	s_cvt_f32_u32 s2, s24
	s_cvt_f32_u32 s27, s25
	s_sub_nc_u64 s[30:31], 0, s[24:25]
	s_wait_alu 0xfffe
	s_delay_alu instid0(SALU_CYCLE_1) | instskip(SKIP_1) | instid1(SALU_CYCLE_2)
	s_fmamk_f32 s2, s27, 0x4f800000, s2
	s_wait_alu 0xfffe
	v_s_rcp_f32 s2, s2
	s_delay_alu instid0(TRANS32_DEP_1) | instskip(SKIP_1) | instid1(SALU_CYCLE_2)
	s_mul_f32 s2, s2, 0x5f7ffffc
	s_wait_alu 0xfffe
	s_mul_f32 s27, s2, 0x2f800000
	s_wait_alu 0xfffe
	s_delay_alu instid0(SALU_CYCLE_2) | instskip(SKIP_1) | instid1(SALU_CYCLE_2)
	s_trunc_f32 s27, s27
	s_wait_alu 0xfffe
	s_fmamk_f32 s2, s27, 0xcf800000, s2
	s_cvt_u32_f32 s29, s27
	s_wait_alu 0xfffe
	s_delay_alu instid0(SALU_CYCLE_1) | instskip(SKIP_1) | instid1(SALU_CYCLE_2)
	s_cvt_u32_f32 s28, s2
	s_wait_alu 0xfffe
	s_mul_u64 s[34:35], s[30:31], s[28:29]
	s_wait_alu 0xfffe
	s_mul_hi_u32 s37, s28, s35
	s_mul_i32 s36, s28, s35
	s_mul_hi_u32 s2, s28, s34
	s_mul_i32 s33, s29, s34
	s_wait_alu 0xfffe
	s_add_nc_u64 s[36:37], s[2:3], s[36:37]
	s_mul_hi_u32 s27, s29, s34
	s_mul_hi_u32 s38, s29, s35
	s_add_co_u32 s2, s36, s33
	s_wait_alu 0xfffe
	s_add_co_ci_u32 s2, s37, s27
	s_mul_i32 s34, s29, s35
	s_add_co_ci_u32 s35, s38, 0
	s_wait_alu 0xfffe
	s_add_nc_u64 s[34:35], s[2:3], s[34:35]
	s_wait_alu 0xfffe
	v_add_co_u32 v4, s2, s28, s34
	s_delay_alu instid0(VALU_DEP_1) | instskip(SKIP_1) | instid1(VALU_DEP_1)
	s_cmp_lg_u32 s2, 0
	s_add_co_ci_u32 s29, s29, s35
	v_readfirstlane_b32 s28, v4
	s_wait_alu 0xfffe
	s_delay_alu instid0(VALU_DEP_1)
	s_mul_u64 s[30:31], s[30:31], s[28:29]
	s_wait_alu 0xfffe
	s_mul_hi_u32 s35, s28, s31
	s_mul_i32 s34, s28, s31
	s_mul_hi_u32 s2, s28, s30
	s_mul_i32 s33, s29, s30
	s_wait_alu 0xfffe
	s_add_nc_u64 s[34:35], s[2:3], s[34:35]
	s_mul_hi_u32 s27, s29, s30
	s_mul_hi_u32 s28, s29, s31
	s_wait_alu 0xfffe
	s_add_co_u32 s2, s34, s33
	s_add_co_ci_u32 s2, s35, s27
	s_mul_i32 s30, s29, s31
	s_add_co_ci_u32 s31, s28, 0
	s_wait_alu 0xfffe
	s_add_nc_u64 s[30:31], s[2:3], s[30:31]
	s_wait_alu 0xfffe
	v_add_co_u32 v8, s2, v4, s30
	s_delay_alu instid0(VALU_DEP_1) | instskip(SKIP_1) | instid1(VALU_DEP_1)
	s_cmp_lg_u32 s2, 0
	s_add_co_ci_u32 s2, s29, s31
	v_mul_hi_u32 v10, v11, v8
	s_wait_alu 0xfffe
	v_mad_co_u64_u32 v[4:5], null, v11, s2, 0
	v_mad_co_u64_u32 v[8:9], null, v12, v8, 0
	;; [unrolled: 1-line block ×3, first 2 shown]
	s_delay_alu instid0(VALU_DEP_3) | instskip(SKIP_1) | instid1(VALU_DEP_4)
	v_add_co_u32 v4, vcc_lo, v10, v4
	s_wait_alu 0xfffd
	v_add_co_ci_u32_e32 v5, vcc_lo, 0, v5, vcc_lo
	s_delay_alu instid0(VALU_DEP_2) | instskip(SKIP_1) | instid1(VALU_DEP_2)
	v_add_co_u32 v4, vcc_lo, v4, v8
	s_wait_alu 0xfffd
	v_add_co_ci_u32_e32 v4, vcc_lo, v5, v9, vcc_lo
	s_wait_alu 0xfffd
	v_add_co_ci_u32_e32 v5, vcc_lo, 0, v14, vcc_lo
	s_delay_alu instid0(VALU_DEP_2) | instskip(SKIP_1) | instid1(VALU_DEP_2)
	v_add_co_u32 v8, vcc_lo, v4, v13
	s_wait_alu 0xfffd
	v_add_co_ci_u32_e32 v9, vcc_lo, 0, v5, vcc_lo
	s_delay_alu instid0(VALU_DEP_2) | instskip(SKIP_1) | instid1(VALU_DEP_3)
	v_mul_lo_u32 v10, s25, v8
	v_mad_co_u64_u32 v[4:5], null, s24, v8, 0
	v_mul_lo_u32 v13, s24, v9
	s_delay_alu instid0(VALU_DEP_2) | instskip(NEXT) | instid1(VALU_DEP_2)
	v_sub_co_u32 v4, vcc_lo, v11, v4
	v_add3_u32 v5, v5, v13, v10
	s_delay_alu instid0(VALU_DEP_1) | instskip(SKIP_1) | instid1(VALU_DEP_1)
	v_sub_nc_u32_e32 v10, v12, v5
	s_wait_alu 0xfffd
	v_subrev_co_ci_u32_e64 v10, s2, s25, v10, vcc_lo
	v_add_co_u32 v13, s2, v8, 2
	s_wait_alu 0xf1ff
	v_add_co_ci_u32_e64 v14, s2, 0, v9, s2
	v_sub_co_u32 v15, s2, v4, s24
	v_sub_co_ci_u32_e32 v5, vcc_lo, v12, v5, vcc_lo
	s_wait_alu 0xf1ff
	v_subrev_co_ci_u32_e64 v10, s2, 0, v10, s2
	s_delay_alu instid0(VALU_DEP_3) | instskip(NEXT) | instid1(VALU_DEP_3)
	v_cmp_le_u32_e32 vcc_lo, s24, v15
	v_cmp_eq_u32_e64 s2, s25, v5
	s_wait_alu 0xfffd
	v_cndmask_b32_e64 v15, 0, -1, vcc_lo
	v_cmp_le_u32_e32 vcc_lo, s25, v10
	s_wait_alu 0xfffd
	v_cndmask_b32_e64 v16, 0, -1, vcc_lo
	v_cmp_le_u32_e32 vcc_lo, s24, v4
	;; [unrolled: 3-line block ×3, first 2 shown]
	s_wait_alu 0xfffd
	v_cndmask_b32_e64 v17, 0, -1, vcc_lo
	v_cmp_eq_u32_e32 vcc_lo, s25, v10
	s_wait_alu 0xf1ff
	s_delay_alu instid0(VALU_DEP_2)
	v_cndmask_b32_e64 v4, v17, v4, s2
	s_wait_alu 0xfffd
	v_cndmask_b32_e32 v10, v16, v15, vcc_lo
	v_add_co_u32 v15, vcc_lo, v8, 1
	s_wait_alu 0xfffd
	v_add_co_ci_u32_e32 v16, vcc_lo, 0, v9, vcc_lo
	s_delay_alu instid0(VALU_DEP_3) | instskip(SKIP_2) | instid1(VALU_DEP_3)
	v_cmp_ne_u32_e32 vcc_lo, 0, v10
	s_wait_alu 0xfffd
	v_cndmask_b32_e32 v13, v15, v13, vcc_lo
	v_cndmask_b32_e32 v5, v16, v14, vcc_lo
	v_cmp_ne_u32_e32 vcc_lo, 0, v4
	s_wait_alu 0xfffd
	s_delay_alu instid0(VALU_DEP_2)
	v_cndmask_b32_e32 v10, v9, v5, vcc_lo
	v_cndmask_b32_e32 v9, v8, v13, vcc_lo
.LBB0_4:                                ;   in Loop: Header=BB0_2 Depth=1
	s_wait_alu 0xfffe
	s_and_not1_saveexec_b32 s2, s26
	s_cbranch_execz .LBB0_6
; %bb.5:                                ;   in Loop: Header=BB0_2 Depth=1
	v_cvt_f32_u32_e32 v4, s24
	s_sub_co_i32 s26, 0, s24
	v_mov_b32_e32 v10, v3
	s_delay_alu instid0(VALU_DEP_2) | instskip(NEXT) | instid1(TRANS32_DEP_1)
	v_rcp_iflag_f32_e32 v4, v4
	v_mul_f32_e32 v4, 0x4f7ffffe, v4
	s_delay_alu instid0(VALU_DEP_1) | instskip(SKIP_1) | instid1(VALU_DEP_1)
	v_cvt_u32_f32_e32 v4, v4
	s_wait_alu 0xfffe
	v_mul_lo_u32 v5, s26, v4
	s_delay_alu instid0(VALU_DEP_1) | instskip(NEXT) | instid1(VALU_DEP_1)
	v_mul_hi_u32 v5, v4, v5
	v_add_nc_u32_e32 v4, v4, v5
	s_delay_alu instid0(VALU_DEP_1) | instskip(NEXT) | instid1(VALU_DEP_1)
	v_mul_hi_u32 v4, v11, v4
	v_mul_lo_u32 v5, v4, s24
	v_add_nc_u32_e32 v8, 1, v4
	s_delay_alu instid0(VALU_DEP_2) | instskip(NEXT) | instid1(VALU_DEP_1)
	v_sub_nc_u32_e32 v5, v11, v5
	v_subrev_nc_u32_e32 v9, s24, v5
	v_cmp_le_u32_e32 vcc_lo, s24, v5
	s_wait_alu 0xfffd
	s_delay_alu instid0(VALU_DEP_2) | instskip(NEXT) | instid1(VALU_DEP_1)
	v_dual_cndmask_b32 v5, v5, v9 :: v_dual_cndmask_b32 v4, v4, v8
	v_cmp_le_u32_e32 vcc_lo, s24, v5
	s_delay_alu instid0(VALU_DEP_2) | instskip(SKIP_1) | instid1(VALU_DEP_1)
	v_add_nc_u32_e32 v8, 1, v4
	s_wait_alu 0xfffd
	v_cndmask_b32_e32 v9, v4, v8, vcc_lo
.LBB0_6:                                ;   in Loop: Header=BB0_2 Depth=1
	s_wait_alu 0xfffe
	s_or_b32 exec_lo, exec_lo, s2
	v_mul_lo_u32 v8, v10, s24
	s_delay_alu instid0(VALU_DEP_2)
	v_mul_lo_u32 v13, v9, s25
	s_load_b64 s[26:27], s[18:19], 0x0
	v_mad_co_u64_u32 v[4:5], null, v9, s24, 0
	s_load_b64 s[24:25], s[16:17], 0x0
	s_add_nc_u64 s[20:21], s[20:21], 1
	s_add_nc_u64 s[16:17], s[16:17], 8
	s_wait_alu 0xfffe
	v_cmp_ge_u64_e64 s2, s[20:21], s[6:7]
	s_add_nc_u64 s[18:19], s[18:19], 8
	s_add_nc_u64 s[22:23], s[22:23], 8
	v_add3_u32 v5, v5, v13, v8
	v_sub_co_u32 v4, vcc_lo, v11, v4
	s_wait_alu 0xfffd
	s_delay_alu instid0(VALU_DEP_2) | instskip(SKIP_2) | instid1(VALU_DEP_1)
	v_sub_co_ci_u32_e32 v5, vcc_lo, v12, v5, vcc_lo
	s_and_b32 vcc_lo, exec_lo, s2
	s_wait_kmcnt 0x0
	v_mul_lo_u32 v8, s26, v5
	v_mul_lo_u32 v11, s27, v4
	v_mad_co_u64_u32 v[6:7], null, s26, v4, v[6:7]
	v_mul_lo_u32 v5, s24, v5
	v_mul_lo_u32 v12, s25, v4
	v_mad_co_u64_u32 v[1:2], null, s24, v4, v[1:2]
	s_delay_alu instid0(VALU_DEP_4) | instskip(NEXT) | instid1(VALU_DEP_2)
	v_add3_u32 v7, v11, v7, v8
	v_add3_u32 v2, v12, v2, v5
	s_wait_alu 0xfffe
	s_cbranch_vccnz .LBB0_9
; %bb.7:                                ;   in Loop: Header=BB0_2 Depth=1
	v_dual_mov_b32 v12, v10 :: v_dual_mov_b32 v11, v9
	s_branch .LBB0_2
.LBB0_8:
	v_dual_mov_b32 v1, v6 :: v_dual_mov_b32 v2, v7
	v_dual_mov_b32 v9, v11 :: v_dual_mov_b32 v10, v12
.LBB0_9:
	s_load_b64 s[0:1], s[0:1], 0x28
	v_mul_hi_u32 v3, 0x226b903, v0
	v_dual_mov_b32 v5, 0 :: v_dual_mov_b32 v4, 0
	s_lshl_b64 s[2:3], s[6:7], 3
                                        ; implicit-def: $vgpr49
                                        ; implicit-def: $vgpr51
                                        ; implicit-def: $vgpr53
                                        ; implicit-def: $vgpr55
                                        ; implicit-def: $vgpr57
                                        ; implicit-def: $vgpr40
                                        ; implicit-def: $vgpr34
                                        ; implicit-def: $vgpr28
                                        ; implicit-def: $vgpr30
                                        ; implicit-def: $vgpr26
                                        ; implicit-def: $vgpr20
                                        ; implicit-def: $vgpr22
                                        ; implicit-def: $vgpr24
                                        ; implicit-def: $vgpr32
                                        ; implicit-def: $vgpr36
                                        ; implicit-def: $vgpr38
	s_delay_alu instid0(VALU_DEP_2) | instskip(NEXT) | instid1(VALU_DEP_1)
	v_mul_u32_u24_e32 v3, 0x77, v3
	v_sub_nc_u32_e32 v3, v0, v3
	s_wait_kmcnt 0x0
	v_cmp_gt_u64_e32 vcc_lo, s[0:1], v[9:10]
	s_delay_alu instid0(VALU_DEP_2) | instskip(NEXT) | instid1(VALU_DEP_1)
	v_cmp_gt_u32_e64 s0, 0x69, v3
	s_and_b32 s1, vcc_lo, s0
	s_wait_alu 0xfffe
	s_and_saveexec_b32 s6, s1
	s_cbranch_execz .LBB0_11
; %bb.10:
	s_add_nc_u64 s[12:13], s[12:13], s[2:3]
	s_load_b64 s[12:13], s[12:13], 0x0
	s_wait_kmcnt 0x0
	v_mul_lo_u32 v0, s13, v9
	v_mul_lo_u32 v8, s12, v10
	v_mad_co_u64_u32 v[4:5], null, s12, v9, 0
	s_delay_alu instid0(VALU_DEP_1) | instskip(NEXT) | instid1(VALU_DEP_1)
	v_add3_u32 v5, v5, v8, v0
	v_lshlrev_b64_e32 v[11:12], 3, v[4:5]
	v_mov_b32_e32 v4, 0
	v_lshlrev_b64_e32 v[5:6], 3, v[6:7]
	s_delay_alu instid0(VALU_DEP_2) | instskip(NEXT) | instid1(VALU_DEP_4)
	v_lshlrev_b64_e32 v[7:8], 3, v[3:4]
	v_add_co_u32 v0, s1, s8, v11
	s_wait_alu 0xf1ff
	v_add_co_ci_u32_e64 v11, s1, s9, v12, s1
	s_delay_alu instid0(VALU_DEP_2) | instskip(SKIP_1) | instid1(VALU_DEP_2)
	v_add_co_u32 v0, s1, v0, v5
	s_wait_alu 0xf1ff
	v_add_co_ci_u32_e64 v4, s1, v11, v6, s1
	s_delay_alu instid0(VALU_DEP_2) | instskip(SKIP_1) | instid1(VALU_DEP_2)
	v_add_co_u32 v6, s1, v0, v7
	s_wait_alu 0xf1ff
	v_add_co_ci_u32_e64 v7, s1, v4, v8, s1
	s_clause 0x10
	global_load_b64 v[4:5], v[6:7], off
	global_load_b64 v[48:49], v[6:7], off offset:840
	global_load_b64 v[50:51], v[6:7], off offset:1680
	;; [unrolled: 1-line block ×16, first 2 shown]
.LBB0_11:
	s_wait_alu 0xfffe
	s_or_b32 exec_lo, exec_lo, s6
	s_wait_loadcnt 0x0
	v_dual_sub_f32 v65, v49, v24 :: v_dual_add_f32 v72, v48, v23
	v_sub_f32_e32 v66, v51, v22
	v_dual_add_f32 v70, v50, v21 :: v_dual_add_f32 v69, v52, v19
	s_delay_alu instid0(VALU_DEP_3) | instskip(NEXT) | instid1(VALU_DEP_3)
	v_dual_mul_f32 v11, 0xbf2c7751, v65 :: v_dual_sub_f32 v46, v53, v20
	v_dual_add_f32 v71, v54, v31 :: v_dual_mul_f32 v12, 0xbf2c7751, v66
	v_sub_f32_e32 v61, v55, v32
	s_delay_alu instid0(VALU_DEP_3) | instskip(SKIP_3) | instid1(VALU_DEP_4)
	v_fma_f32 v7, 0x3f3d2fb0, v72, -v11
	v_mul_f32_e32 v0, 0xbeb8f4ab, v65
	v_dual_mul_f32 v13, 0xbf65296c, v46 :: v_dual_sub_f32 v62, v57, v36
	v_fma_f32 v15, 0x3f3d2fb0, v70, -v12
	v_dual_add_f32 v7, v4, v7 :: v_dual_mul_f32 v8, 0xbf7ee86f, v66
	s_delay_alu instid0(VALU_DEP_4) | instskip(NEXT) | instid1(VALU_DEP_4)
	v_fma_f32 v6, 0x3f6eb680, v72, -v0
	v_fma_f32 v17, 0x3ee437d1, v69, -v13
	v_sub_f32_e32 v45, v40, v26
	v_add_f32_e32 v63, v56, v35
	v_fma_f32 v16, 0x3dbcf732, v70, -v8
	v_add_f32_e32 v6, v4, v6
	v_dual_add_f32 v64, v39, v25 :: v_dual_sub_f32 v47, v34, v38
	v_add_f32_e32 v67, v33, v37
	s_delay_alu instid0(VALU_DEP_4) | instskip(SKIP_2) | instid1(VALU_DEP_3)
	v_dual_add_f32 v7, v16, v7 :: v_dual_mul_f32 v14, 0xbf4c4adb, v46
	v_mul_f32_e32 v16, 0xbe3c28d5, v61
	v_dual_add_f32 v6, v15, v6 :: v_dual_mul_f32 v15, 0xbf7ee86f, v61
	v_fma_f32 v18, 0xbf1a4643, v69, -v14
	s_delay_alu instid0(VALU_DEP_3) | instskip(NEXT) | instid1(VALU_DEP_3)
	v_fma_f32 v42, 0xbf7ba420, v71, -v16
	v_fma_f32 v41, 0x3dbcf732, v71, -v15
	s_delay_alu instid0(VALU_DEP_3) | instskip(SKIP_1) | instid1(VALU_DEP_2)
	v_dual_add_f32 v7, v18, v7 :: v_dual_add_f32 v6, v17, v6
	v_mul_f32_e32 v17, 0xbf763a35, v62
	v_dual_add_f32 v7, v42, v7 :: v_dual_mul_f32 v18, 0x3f06c442, v62
	s_delay_alu instid0(VALU_DEP_3) | instskip(NEXT) | instid1(VALU_DEP_3)
	v_dual_add_f32 v6, v41, v6 :: v_dual_mul_f32 v41, 0xbf4c4adb, v45
	v_fma_f32 v43, 0xbe8c1d8e, v63, -v17
	v_mul_f32_e32 v42, 0x3f763a35, v45
	s_delay_alu instid0(VALU_DEP_4) | instskip(NEXT) | instid1(VALU_DEP_4)
	v_fma_f32 v44, 0xbf59a7d5, v63, -v18
	v_fma_f32 v58, 0xbf1a4643, v64, -v41
	s_delay_alu instid0(VALU_DEP_4) | instskip(NEXT) | instid1(VALU_DEP_4)
	v_add_f32_e32 v6, v6, v43
	v_fma_f32 v59, 0xbe8c1d8e, v64, -v42
	s_delay_alu instid0(VALU_DEP_4) | instskip(NEXT) | instid1(VALU_DEP_3)
	v_add_f32_e32 v7, v7, v44
	v_dual_mul_f32 v43, 0xbf06c442, v47 :: v_dual_add_f32 v6, v58, v6
	s_delay_alu instid0(VALU_DEP_2) | instskip(SKIP_1) | instid1(VALU_DEP_3)
	v_dual_sub_f32 v58, v28, v30 :: v_dual_add_f32 v7, v59, v7
	v_mul_f32_e32 v44, 0x3f65296c, v47
	v_fma_f32 v73, 0xbf59a7d5, v67, -v43
	s_delay_alu instid0(VALU_DEP_3) | instskip(SKIP_1) | instid1(VALU_DEP_4)
	v_dual_add_f32 v68, v27, v29 :: v_dual_mul_f32 v59, 0xbe3c28d5, v58
	v_mul_f32_e32 v60, 0x3eb8f4ab, v58
	v_fma_f32 v74, 0x3ee437d1, v67, -v44
	s_delay_alu instid0(VALU_DEP_1) | instskip(NEXT) | instid1(VALU_DEP_4)
	v_dual_add_f32 v6, v6, v73 :: v_dual_add_f32 v73, v7, v74
	v_fma_f32 v7, 0xbf7ba420, v68, -v59
	s_delay_alu instid0(VALU_DEP_4) | instskip(NEXT) | instid1(VALU_DEP_1)
	v_fma_f32 v74, 0x3f6eb680, v68, -v60
	v_dual_add_f32 v7, v7, v6 :: v_dual_add_f32 v6, v74, v73
	s_and_saveexec_b32 s1, s0
	s_cbranch_execz .LBB0_13
; %bb.12:
	v_mul_f32_e32 v77, 0xbf59a7d5, v69
	v_mul_f32_e32 v73, 0xbf7ba420, v72
	v_mul_f32_e32 v91, 0x3ee437d1, v71
	v_mul_f32_e32 v92, 0xbe8c1d8e, v69
	s_delay_alu instid0(VALU_DEP_4) | instskip(SKIP_2) | instid1(VALU_DEP_1)
	v_fmamk_f32 v85, v46, 0x3f06c442, v77
	v_fmac_f32_e32 v77, 0xbf06c442, v46
	v_mul_f32_e32 v76, 0x3f6eb680, v70
	v_fmamk_f32 v82, v66, 0xbeb8f4ab, v76
	v_fmac_f32_e32 v76, 0x3eb8f4ab, v66
	v_fmamk_f32 v78, v65, 0x3e3c28d5, v73
	s_delay_alu instid0(VALU_DEP_1) | instskip(SKIP_1) | instid1(VALU_DEP_2)
	v_dual_add_f32 v78, v4, v78 :: v_dual_fmac_f32 v73, 0xbe3c28d5, v65
	v_mul_f32_e32 v74, 0x3f6eb680, v72
	v_dual_mul_f32 v75, 0x3f3d2fb0, v72 :: v_dual_add_f32 v78, v82, v78
	s_delay_alu instid0(VALU_DEP_3) | instskip(SKIP_3) | instid1(VALU_DEP_4)
	v_add_f32_e32 v73, v4, v73
	v_mul_f32_e32 v79, 0x3f3d2fb0, v71
	v_mul_f32_e32 v82, 0xbf59a7d5, v72
	v_add_f32_e32 v0, v0, v74
	v_dual_add_f32 v78, v85, v78 :: v_dual_add_f32 v73, v76, v73
	s_delay_alu instid0(VALU_DEP_4) | instskip(SKIP_2) | instid1(VALU_DEP_4)
	v_fmamk_f32 v86, v61, 0xbf2c7751, v79
	v_fmac_f32_e32 v79, 0x3f2c7751, v61
	v_mul_f32_e32 v81, 0x3ee437d1, v64
	v_dual_add_f32 v0, v4, v0 :: v_dual_add_f32 v73, v77, v73
	s_delay_alu instid0(VALU_DEP_4) | instskip(SKIP_1) | instid1(VALU_DEP_4)
	v_add_f32_e32 v76, v86, v78
	v_mul_f32_e32 v80, 0xbf1a4643, v63
	v_fmamk_f32 v86, v45, 0xbf65296c, v81
	v_fmac_f32_e32 v81, 0x3f65296c, v45
	v_add_f32_e32 v73, v79, v73
	v_add_f32_e32 v11, v11, v75
	v_fmamk_f32 v87, v62, 0x3f4c4adb, v80
	v_fmac_f32_e32 v80, 0xbf4c4adb, v62
	s_delay_alu instid0(VALU_DEP_2) | instskip(SKIP_2) | instid1(VALU_DEP_4)
	v_add_f32_e32 v76, v76, v87
	v_mul_f32_e32 v83, 0xbe8c1d8e, v67
	v_fmamk_f32 v87, v65, 0x3f06c442, v82
	v_dual_fmac_f32 v82, 0xbf06c442, v65 :: v_dual_add_f32 v73, v73, v80
	s_delay_alu instid0(VALU_DEP_4) | instskip(NEXT) | instid1(VALU_DEP_2)
	v_add_f32_e32 v76, v86, v76
	v_dual_add_f32 v82, v4, v82 :: v_dual_fmamk_f32 v77, v47, 0x3f763a35, v83
	v_mul_f32_e32 v85, 0x3ee437d1, v70
	s_delay_alu instid0(VALU_DEP_4) | instskip(SKIP_2) | instid1(VALU_DEP_4)
	v_add_f32_e32 v73, v81, v73
	v_fmac_f32_e32 v83, 0xbf763a35, v47
	v_mul_f32_e32 v78, 0x3dbcf732, v69
	v_dual_add_f32 v76, v76, v77 :: v_dual_fmamk_f32 v79, v66, 0xbf65296c, v85
	v_fmac_f32_e32 v85, 0x3f65296c, v66
	s_delay_alu instid0(VALU_DEP_3) | instskip(SKIP_1) | instid1(VALU_DEP_3)
	v_dual_add_f32 v73, v73, v83 :: v_dual_fmamk_f32 v80, v46, 0x3f7ee86f, v78
	v_fmac_f32_e32 v78, 0xbf7ee86f, v46
	v_dual_mul_f32 v83, 0xbf1a4643, v72 :: v_dual_add_f32 v82, v85, v82
	v_mul_f32_e32 v81, 0xbf7ba420, v64
	v_mul_f32_e32 v85, 0xbe8c1d8e, v70
	s_delay_alu instid0(VALU_DEP_3) | instskip(SKIP_1) | instid1(VALU_DEP_1)
	v_add_f32_e32 v78, v78, v82
	v_add_f32_e32 v86, v4, v87
	v_dual_mul_f32 v84, 0x3dbcf732, v68 :: v_dual_add_f32 v79, v79, v86
	s_delay_alu instid0(VALU_DEP_1) | instskip(SKIP_2) | instid1(VALU_DEP_2)
	v_fmamk_f32 v77, v58, 0xbf7ee86f, v84
	v_fmac_f32_e32 v84, 0x3f7ee86f, v58
	v_mul_f32_e32 v86, 0xbf1a4643, v71
	v_dual_add_f32 v76, v77, v76 :: v_dual_add_f32 v73, v84, v73
	v_mul_f32_e32 v84, 0x3f3d2fb0, v67
	v_add_f32_e32 v77, v80, v79
	v_mul_f32_e32 v80, 0x3f6eb680, v63
	s_delay_alu instid0(VALU_DEP_3) | instskip(SKIP_3) | instid1(VALU_DEP_2)
	v_fmamk_f32 v87, v47, 0xbf2c7751, v84
	v_fmac_f32_e32 v84, 0x3f2c7751, v47
	v_fmamk_f32 v79, v61, 0xbf4c4adb, v86
	v_fmac_f32_e32 v86, 0x3f4c4adb, v61
	v_add_f32_e32 v77, v79, v77
	v_fmamk_f32 v79, v62, 0x3eb8f4ab, v80
	s_delay_alu instid0(VALU_DEP_3) | instskip(SKIP_1) | instid1(VALU_DEP_3)
	v_add_f32_e32 v78, v86, v78
	v_mul_f32_e32 v86, 0xbf59a7d5, v71
	v_add_f32_e32 v77, v77, v79
	v_fmamk_f32 v79, v45, 0x3e3c28d5, v81
	v_fmac_f32_e32 v81, 0xbe3c28d5, v45
	s_delay_alu instid0(VALU_DEP_2) | instskip(SKIP_3) | instid1(VALU_DEP_4)
	v_add_f32_e32 v77, v79, v77
	v_fmamk_f32 v79, v65, 0x3f4c4adb, v83
	v_fmac_f32_e32 v80, 0xbeb8f4ab, v62
	v_fmac_f32_e32 v83, 0xbf4c4adb, v65
	v_add_f32_e32 v77, v77, v87
	s_delay_alu instid0(VALU_DEP_4)
	v_add_f32_e32 v79, v4, v79
	v_mul_f32_e32 v87, 0xbe8c1d8e, v68
	v_add_f32_e32 v78, v78, v80
	v_dual_fmamk_f32 v80, v61, 0x3f06c442, v86 :: v_dual_add_f32 v83, v4, v83
	v_fmamk_f32 v82, v66, 0xbf763a35, v85
	v_mul_f32_e32 v88, 0x3f6eb680, v69
	s_delay_alu instid0(VALU_DEP_4) | instskip(SKIP_1) | instid1(VALU_DEP_4)
	v_dual_fmamk_f32 v89, v58, 0x3f763a35, v87 :: v_dual_add_f32 v78, v81, v78
	v_mul_f32_e32 v81, 0x3f3d2fb0, v64
	v_add_f32_e32 v79, v82, v79
	s_delay_alu instid0(VALU_DEP_3) | instskip(NEXT) | instid1(VALU_DEP_4)
	v_dual_fmamk_f32 v82, v46, 0x3eb8f4ab, v88 :: v_dual_add_f32 v77, v89, v77
	v_dual_fmac_f32 v85, 0x3f763a35, v66 :: v_dual_add_f32 v78, v78, v84
	v_mul_f32_e32 v84, 0xbf7ba420, v67
	s_delay_alu instid0(VALU_DEP_3) | instskip(SKIP_1) | instid1(VALU_DEP_4)
	v_add_f32_e32 v79, v82, v79
	v_mul_f32_e32 v82, 0x3dbcf732, v63
	v_add_f32_e32 v83, v85, v83
	v_mul_f32_e32 v89, 0xbe8c1d8e, v72
	v_mul_f32_e32 v85, 0xbf59a7d5, v70
	s_delay_alu instid0(VALU_DEP_4) | instskip(NEXT) | instid1(VALU_DEP_1)
	v_dual_add_f32 v79, v80, v79 :: v_dual_fmamk_f32 v80, v62, 0xbf7ee86f, v82
	v_dual_add_f32 v79, v79, v80 :: v_dual_fmac_f32 v86, 0xbf06c442, v61
	v_fmac_f32_e32 v88, 0xbeb8f4ab, v46
	s_delay_alu instid0(VALU_DEP_1) | instskip(NEXT) | instid1(VALU_DEP_1)
	v_dual_fmamk_f32 v80, v45, 0x3f2c7751, v81 :: v_dual_add_f32 v83, v88, v83
	v_dual_add_f32 v79, v80, v79 :: v_dual_fmamk_f32 v80, v47, 0x3e3c28d5, v84
	v_fmac_f32_e32 v84, 0xbe3c28d5, v47
	s_delay_alu instid0(VALU_DEP_3) | instskip(NEXT) | instid1(VALU_DEP_3)
	v_add_f32_e32 v83, v86, v83
	v_dual_add_f32 v79, v79, v80 :: v_dual_fmamk_f32 v80, v65, 0x3f763a35, v89
	v_fmac_f32_e32 v82, 0x3f7ee86f, v62
	v_fmac_f32_e32 v89, 0xbf763a35, v65
	v_mul_f32_e32 v90, 0x3f3d2fb0, v69
	s_delay_alu instid0(VALU_DEP_4) | instskip(NEXT) | instid1(VALU_DEP_4)
	v_add_f32_e32 v80, v4, v80
	v_dual_add_f32 v82, v83, v82 :: v_dual_fmamk_f32 v83, v61, 0x3f65296c, v91
	v_fmac_f32_e32 v91, 0xbf65296c, v61
	v_fmac_f32_e32 v81, 0xbf2c7751, v45
	s_delay_alu instid0(VALU_DEP_1) | instskip(NEXT) | instid1(VALU_DEP_1)
	v_add_f32_e32 v81, v81, v82
	v_dual_add_f32 v81, v81, v84 :: v_dual_fmamk_f32 v88, v66, 0xbf06c442, v85
	v_dual_add_f32 v84, v4, v89 :: v_dual_fmac_f32 v85, 0x3f06c442, v66
	v_fmac_f32_e32 v87, 0xbf763a35, v58
	s_delay_alu instid0(VALU_DEP_3) | instskip(SKIP_1) | instid1(VALU_DEP_4)
	v_dual_mul_f32 v89, 0xbf7ba420, v70 :: v_dual_add_f32 v80, v88, v80
	v_fmamk_f32 v88, v46, 0xbf2c7751, v90
	v_add_f32_e32 v84, v85, v84
	v_fmac_f32_e32 v90, 0x3f2c7751, v46
	v_dual_add_f32 v78, v87, v78 :: v_dual_mul_f32 v85, 0x3dbcf732, v72
	s_delay_alu instid0(VALU_DEP_4) | instskip(SKIP_1) | instid1(VALU_DEP_4)
	v_add_f32_e32 v80, v88, v80
	v_mul_f32_e32 v72, 0x3ee437d1, v72
	v_add_f32_e32 v84, v90, v84
	s_delay_alu instid0(VALU_DEP_1) | instskip(SKIP_3) | instid1(VALU_DEP_3)
	v_add_f32_e32 v84, v91, v84
	v_mul_f32_e32 v87, 0x3ee437d1, v68
	v_fmamk_f32 v91, v66, 0x3e3c28d5, v89
	v_fmac_f32_e32 v89, 0xbe3c28d5, v66
	v_fmamk_f32 v86, v58, 0xbf65296c, v87
	s_delay_alu instid0(VALU_DEP_1) | instskip(SKIP_1) | instid1(VALU_DEP_1)
	v_add_f32_e32 v79, v86, v79
	v_mul_f32_e32 v86, 0xbf7ba420, v63
	v_fmamk_f32 v82, v62, 0x3e3c28d5, v86
	v_fmac_f32_e32 v86, 0xbe3c28d5, v62
	s_delay_alu instid0(VALU_DEP_1) | instskip(SKIP_1) | instid1(VALU_DEP_1)
	v_add_f32_e32 v84, v84, v86
	v_fmac_f32_e32 v87, 0x3f65296c, v58
	v_add_f32_e32 v81, v87, v81
	v_fmamk_f32 v87, v65, 0x3f7ee86f, v85
	v_fmac_f32_e32 v85, 0xbf7ee86f, v65
	s_delay_alu instid0(VALU_DEP_2) | instskip(NEXT) | instid1(VALU_DEP_2)
	v_add_f32_e32 v87, v4, v87
	v_dual_add_f32 v85, v4, v85 :: v_dual_mul_f32 v88, 0x3f6eb680, v67
	s_delay_alu instid0(VALU_DEP_1)
	v_dual_add_f32 v86, v91, v87 :: v_dual_add_f32 v85, v89, v85
	v_add_f32_e32 v80, v83, v80
	v_mul_f32_e32 v83, 0x3dbcf732, v64
	v_mul_f32_e32 v89, 0xbf1a4643, v67
	v_fmamk_f32 v87, v46, 0xbf763a35, v92
	v_fmac_f32_e32 v92, 0x3f763a35, v46
	v_add_f32_e32 v80, v80, v82
	v_fmamk_f32 v82, v45, 0xbf7ee86f, v83
	v_fmac_f32_e32 v83, 0x3f7ee86f, v45
	s_delay_alu instid0(VALU_DEP_2) | instskip(SKIP_1) | instid1(VALU_DEP_3)
	v_dual_mul_f32 v91, 0xbf7ba420, v69 :: v_dual_add_f32 v80, v82, v80
	v_fmamk_f32 v82, v47, 0x3eb8f4ab, v88
	v_dual_add_f32 v83, v83, v84 :: v_dual_fmac_f32 v88, 0xbeb8f4ab, v47
	v_dual_add_f32 v84, v87, v86 :: v_dual_mul_f32 v87, 0x3ee437d1, v63
	s_delay_alu instid0(VALU_DEP_3) | instskip(SKIP_1) | instid1(VALU_DEP_4)
	v_add_f32_e32 v80, v80, v82
	v_mul_f32_e32 v82, 0xbf1a4643, v68
	v_add_f32_e32 v83, v83, v88
	v_mul_f32_e32 v88, 0xbf59a7d5, v64
	s_delay_alu instid0(VALU_DEP_3) | instskip(SKIP_1) | instid1(VALU_DEP_2)
	v_fmamk_f32 v90, v58, 0x3f4c4adb, v82
	v_fmac_f32_e32 v82, 0xbf4c4adb, v58
	v_add_f32_e32 v80, v90, v80
	v_mul_f32_e32 v90, 0x3f6eb680, v71
	s_delay_alu instid0(VALU_DEP_3) | instskip(SKIP_2) | instid1(VALU_DEP_4)
	v_dual_add_f32 v82, v82, v83 :: v_dual_add_f32 v83, v92, v85
	v_fmamk_f32 v92, v47, 0xbf4c4adb, v89
	v_fmac_f32_e32 v89, 0x3f4c4adb, v47
	v_fmamk_f32 v86, v61, 0xbeb8f4ab, v90
	v_fmamk_f32 v85, v65, 0x3f65296c, v72
	v_fmac_f32_e32 v90, 0x3eb8f4ab, v61
	v_fmac_f32_e32 v72, 0xbf65296c, v65
	s_delay_alu instid0(VALU_DEP_4) | instskip(SKIP_1) | instid1(VALU_DEP_4)
	v_dual_mul_f32 v65, 0x3ee437d1, v69 :: v_dual_add_f32 v84, v86, v84
	v_fmamk_f32 v86, v62, 0x3f65296c, v87
	v_add_f32_e32 v83, v90, v83
	v_fmac_f32_e32 v87, 0xbf65296c, v62
	v_add_f32_e32 v85, v4, v85
	s_delay_alu instid0(VALU_DEP_4) | instskip(NEXT) | instid1(VALU_DEP_3)
	v_dual_mul_f32 v69, 0xbf1a4643, v69 :: v_dual_add_f32 v84, v84, v86
	v_dual_fmamk_f32 v86, v45, 0x3f06c442, v88 :: v_dual_add_f32 v83, v83, v87
	v_dual_fmamk_f32 v87, v46, 0xbe3c28d5, v91 :: v_dual_add_f32 v72, v4, v72
	s_delay_alu instid0(VALU_DEP_2) | instskip(SKIP_1) | instid1(VALU_DEP_1)
	v_dual_fmac_f32 v91, 0x3e3c28d5, v46 :: v_dual_add_f32 v84, v86, v84
	v_mul_f32_e32 v86, 0xbf1a4643, v70
	v_fmamk_f32 v90, v66, 0x3f4c4adb, v86
	s_delay_alu instid0(VALU_DEP_1) | instskip(NEXT) | instid1(VALU_DEP_1)
	v_dual_add_f32 v85, v90, v85 :: v_dual_mul_f32 v90, 0xbe8c1d8e, v71
	v_add_f32_e32 v85, v87, v85
	s_delay_alu instid0(VALU_DEP_2) | instskip(SKIP_1) | instid1(VALU_DEP_2)
	v_fmamk_f32 v87, v61, 0xbf763a35, v90
	v_fmac_f32_e32 v90, 0x3f763a35, v61
	v_add_f32_e32 v85, v87, v85
	v_fmac_f32_e32 v88, 0xbf06c442, v45
	s_delay_alu instid0(VALU_DEP_1) | instskip(NEXT) | instid1(VALU_DEP_1)
	v_add_f32_e32 v83, v88, v83
	v_dual_mul_f32 v88, 0x3f3d2fb0, v63 :: v_dual_add_f32 v83, v83, v89
	s_delay_alu instid0(VALU_DEP_1) | instskip(SKIP_1) | instid1(VALU_DEP_2)
	v_fmamk_f32 v87, v62, 0xbf2c7751, v88
	v_mul_f32_e32 v89, 0x3f6eb680, v64
	v_add_f32_e32 v85, v85, v87
	s_delay_alu instid0(VALU_DEP_2) | instskip(NEXT) | instid1(VALU_DEP_1)
	v_fmamk_f32 v87, v45, 0x3eb8f4ab, v89
	v_add_f32_e32 v85, v87, v85
	v_add_f32_e32 v87, v4, v48
	s_delay_alu instid0(VALU_DEP_1) | instskip(NEXT) | instid1(VALU_DEP_1)
	v_dual_add_f32 v4, v4, v11 :: v_dual_add_f32 v87, v87, v50
	v_add_f32_e32 v61, v87, v52
	s_delay_alu instid0(VALU_DEP_1) | instskip(NEXT) | instid1(VALU_DEP_1)
	v_add_f32_e32 v61, v61, v54
	v_dual_add_f32 v61, v61, v56 :: v_dual_fmac_f32 v86, 0xbf4c4adb, v66
	s_delay_alu instid0(VALU_DEP_1) | instskip(NEXT) | instid1(VALU_DEP_2)
	v_dual_fmac_f32 v88, 0x3f2c7751, v62 :: v_dual_add_f32 v61, v61, v39
	v_add_f32_e32 v72, v86, v72
	v_mul_f32_e32 v66, 0x3dbcf732, v71
	v_mul_f32_e32 v71, 0xbf7ba420, v71
	s_delay_alu instid0(VALU_DEP_4) | instskip(NEXT) | instid1(VALU_DEP_4)
	v_dual_mul_f32 v86, 0xbe8c1d8e, v63 :: v_dual_add_f32 v61, v61, v33
	v_dual_add_f32 v72, v91, v72 :: v_dual_mul_f32 v63, 0xbf59a7d5, v63
	s_delay_alu instid0(VALU_DEP_2) | instskip(NEXT) | instid1(VALU_DEP_2)
	v_dual_mul_f32 v62, 0x3f3d2fb0, v68 :: v_dual_add_f32 v11, v61, v27
	v_add_f32_e32 v72, v90, v72
	v_mul_f32_e32 v46, 0x3dbcf732, v67
	v_mul_f32_e32 v87, 0xbf1a4643, v64
	;; [unrolled: 1-line block ×3, first 2 shown]
	s_delay_alu instid0(VALU_DEP_4) | instskip(NEXT) | instid1(VALU_DEP_4)
	v_add_f32_e32 v61, v72, v88
	v_fmamk_f32 v91, v47, 0x3f7ee86f, v46
	s_delay_alu instid0(VALU_DEP_1) | instskip(SKIP_2) | instid1(VALU_DEP_2)
	v_dual_add_f32 v85, v85, v91 :: v_dual_add_f32 v84, v84, v92
	v_mul_f32_e32 v92, 0x3f3d2fb0, v70
	v_mul_f32_e32 v70, 0x3dbcf732, v70
	v_dual_mul_f32 v91, 0xbf59a7d5, v67 :: v_dual_add_f32 v12, v12, v92
	s_delay_alu instid0(VALU_DEP_2) | instskip(NEXT) | instid1(VALU_DEP_2)
	v_add_f32_e32 v8, v8, v70
	v_add_f32_e32 v0, v12, v0
	s_delay_alu instid0(VALU_DEP_2)
	v_add_f32_e32 v4, v8, v4
	v_add_f32_e32 v8, v11, v29
	;; [unrolled: 1-line block ×3, first 2 shown]
	v_mul_f32_e32 v75, 0x3f6eb680, v68
	v_mul_f32_e32 v68, 0xbf59a7d5, v68
	v_fmac_f32_e32 v89, 0xbeb8f4ab, v45
	v_dual_mul_f32 v67, 0x3ee437d1, v67 :: v_dual_add_f32 v8, v8, v37
	v_add_f32_e32 v12, v13, v65
	v_mul_f32_e32 v64, 0xbe8c1d8e, v64
	v_fmamk_f32 v92, v58, 0x3f06c442, v68
	v_dual_add_f32 v4, v11, v4 :: v_dual_add_f32 v11, v16, v71
	v_dual_add_f32 v13, v89, v61 :: v_dual_fmac_f32 v46, 0xbf7ee86f, v47
	v_fmac_f32_e32 v68, 0xbf06c442, v58
	v_add_f32_e32 v0, v12, v0
	s_delay_alu instid0(VALU_DEP_4) | instskip(NEXT) | instid1(VALU_DEP_4)
	v_dual_add_f32 v4, v11, v4 :: v_dual_add_f32 v11, v18, v63
	v_dual_fmamk_f32 v74, v58, 0xbf2c7751, v62 :: v_dual_add_f32 v13, v13, v46
	v_fmac_f32_e32 v62, 0x3f2c7751, v58
	v_add_f32_e32 v12, v15, v66
	s_delay_alu instid0(VALU_DEP_3) | instskip(SKIP_1) | instid1(VALU_DEP_3)
	v_dual_add_f32 v14, v74, v84 :: v_dual_add_f32 v13, v68, v13
	v_dual_add_f32 v4, v4, v11 :: v_dual_add_f32 v11, v42, v64
	v_add_f32_e32 v0, v12, v0
	v_add_f32_e32 v12, v17, v86
	;; [unrolled: 1-line block ×3, first 2 shown]
	s_delay_alu instid0(VALU_DEP_4) | instskip(SKIP_1) | instid1(VALU_DEP_2)
	v_dual_add_f32 v4, v11, v4 :: v_dual_add_f32 v11, v44, v67
	v_add_f32_e32 v15, v92, v85
	v_add_f32_e32 v4, v4, v11
	s_delay_alu instid0(VALU_DEP_4) | instskip(NEXT) | instid1(VALU_DEP_1)
	v_dual_add_f32 v11, v60, v75 :: v_dual_add_f32 v8, v35, v8
	v_add_f32_e32 v4, v11, v4
	s_delay_alu instid0(VALU_DEP_2) | instskip(SKIP_2) | instid1(VALU_DEP_3)
	v_dual_add_f32 v8, v31, v8 :: v_dual_add_f32 v11, v62, v83
	v_add_f32_e32 v0, v0, v12
	v_add_f32_e32 v12, v41, v87
	v_add_f32_e32 v8, v19, v8
	s_delay_alu instid0(VALU_DEP_2) | instskip(SKIP_1) | instid1(VALU_DEP_3)
	v_add_f32_e32 v0, v12, v0
	v_add_f32_e32 v12, v43, v91
	v_add_f32_e32 v8, v21, v8
	s_delay_alu instid0(VALU_DEP_2) | instskip(SKIP_1) | instid1(VALU_DEP_3)
	v_add_f32_e32 v0, v0, v12
	v_add_f32_e32 v12, v59, v90
	;; [unrolled: 1-line block ×3, first 2 shown]
	s_delay_alu instid0(VALU_DEP_2)
	v_add_f32_e32 v0, v12, v0
	v_mad_u32_u24 v12, 0x44, v3, 0
	ds_store_2addr_b32 v12, v8, v0 offset1:1
	ds_store_2addr_b32 v12, v4, v13 offset0:2 offset1:3
	ds_store_2addr_b32 v12, v11, v82 offset0:4 offset1:5
	;; [unrolled: 1-line block ×7, first 2 shown]
	ds_store_b32 v12, v7 offset:64
.LBB0_13:
	s_wait_alu 0xfffe
	s_or_b32 exec_lo, exec_lo, s1
	v_dual_sub_f32 v79, v48, v23 :: v_dual_add_f32 v74, v49, v24
	v_dual_sub_f32 v71, v50, v21 :: v_dual_add_f32 v70, v51, v22
	s_delay_alu instid0(VALU_DEP_2) | instskip(SKIP_2) | instid1(VALU_DEP_4)
	v_dual_sub_f32 v50, v39, v25 :: v_dual_mul_f32 v77, 0xbeb8f4ab, v79
	v_add_f32_e32 v66, v53, v20
	v_dual_mul_f32 v78, 0xbf2c7751, v79 :: v_dual_add_f32 v39, v40, v26
	v_mul_f32_e32 v76, 0xbf2c7751, v71
	s_delay_alu instid0(VALU_DEP_4) | instskip(SKIP_1) | instid1(VALU_DEP_4)
	v_dual_fmamk_f32 v0, v74, 0x3f6eb680, v77 :: v_dual_sub_f32 v67, v52, v19
	v_mul_f32_e32 v75, 0xbf7ee86f, v71
	v_dual_fmamk_f32 v4, v74, 0x3f3d2fb0, v78 :: v_dual_sub_f32 v59, v56, v35
	s_delay_alu instid0(VALU_DEP_3) | instskip(NEXT) | instid1(VALU_DEP_4)
	v_add_f32_e32 v0, v5, v0
	v_dual_mul_f32 v72, 0xbf4c4adb, v67 :: v_dual_mul_f32 v61, 0xbf4c4adb, v50
	s_delay_alu instid0(VALU_DEP_3) | instskip(SKIP_2) | instid1(VALU_DEP_3)
	v_dual_fmamk_f32 v11, v70, 0x3dbcf732, v75 :: v_dual_add_f32 v4, v5, v4
	v_dual_sub_f32 v63, v54, v31 :: v_dual_add_f32 v62, v55, v32
	v_dual_add_f32 v58, v57, v36 :: v_dual_mul_f32 v65, 0xbf763a35, v59
	v_dual_add_f32 v4, v11, v4 :: v_dual_fmamk_f32 v11, v66, 0xbf1a4643, v72
	s_delay_alu instid0(VALU_DEP_3) | instskip(SKIP_1) | instid1(VALU_DEP_3)
	v_mul_f32_e32 v68, 0xbe3c28d5, v63
	v_dual_mul_f32 v64, 0x3f06c442, v59 :: v_dual_sub_f32 v35, v33, v37
	v_dual_add_f32 v33, v34, v38 :: v_dual_add_f32 v4, v11, v4
	s_delay_alu instid0(VALU_DEP_3) | instskip(SKIP_3) | instid1(VALU_DEP_4)
	v_fmamk_f32 v11, v62, 0xbf7ba420, v68
	v_dual_fmamk_f32 v8, v70, 0x3f3d2fb0, v76 :: v_dual_sub_f32 v23, v27, v29
	v_mul_f32_e32 v73, 0xbf65296c, v67
	v_mul_f32_e32 v52, 0x3f65296c, v35
	v_dual_add_f32 v4, v11, v4 :: v_dual_fmamk_f32 v11, v58, 0xbf59a7d5, v64
	s_delay_alu instid0(VALU_DEP_4)
	v_mul_f32_e32 v37, 0x3eb8f4ab, v23
	v_mul_f32_e32 v60, 0x3f763a35, v50
	v_add_f32_e32 v0, v8, v0
	v_mul_f32_e32 v56, 0xbe3c28d5, v23
	v_add_f32_e32 v4, v4, v11
	v_mul_f32_e32 v54, 0xbf06c442, v35
	v_fmamk_f32 v11, v39, 0xbe8c1d8e, v60
	v_dual_fmamk_f32 v8, v66, 0x3ee437d1, v73 :: v_dual_add_f32 v29, v28, v30
	global_wb scope:SCOPE_SE
	s_wait_dscnt 0x0
	v_dual_fmamk_f32 v80, v33, 0xbf59a7d5, v54 :: v_dual_add_f32 v13, v11, v4
	v_dual_mul_f32 v69, 0xbf7ee86f, v63 :: v_dual_add_f32 v0, v8, v0
	v_fmamk_f32 v81, v33, 0x3ee437d1, v52
	s_barrier_signal -1
	s_barrier_wait -1
	s_delay_alu instid0(VALU_DEP_2) | instskip(SKIP_4) | instid1(VALU_DEP_1)
	v_fmamk_f32 v8, v62, 0x3dbcf732, v69
	global_inv scope:SCOPE_SE
	s_add_nc_u64 s[2:3], s[14:15], s[2:3]
	v_add_f32_e32 v0, v8, v0
	v_fmamk_f32 v8, v58, 0xbe8c1d8e, v65
	v_add_f32_e32 v0, v0, v8
	v_fmamk_f32 v8, v39, 0xbf1a4643, v61
	s_delay_alu instid0(VALU_DEP_1) | instskip(SKIP_1) | instid1(VALU_DEP_2)
	v_add_f32_e32 v12, v8, v0
	v_lshl_add_u32 v0, v3, 2, 0
	v_add_f32_e32 v12, v12, v80
	s_delay_alu instid0(VALU_DEP_2)
	v_add_nc_u32_e32 v8, 0x600, v0
	v_dual_add_f32 v80, v13, v81 :: v_dual_add_nc_u32 v11, 0x1200, v0
	v_add_nc_u32_e32 v25, 0xa00, v0
	v_add_nc_u32_e32 v21, 0x200, v0
	;; [unrolled: 1-line block ×4, first 2 shown]
	ds_load_2addr_b32 v[16:17], v0 offset1:119
	ds_load_2addr_b32 v[14:15], v8 offset0:92 offset1:211
	ds_load_2addr_b32 v[45:46], v11 offset0:38 offset1:157
	;; [unrolled: 1-line block ×5, first 2 shown]
	ds_load_b32 v4, v0 offset:6664
	ds_load_2addr_b32 v[43:44], v27 offset0:56 offset1:175
	v_fmamk_f32 v13, v29, 0xbf7ba420, v56
	v_fmamk_f32 v81, v29, 0x3f6eb680, v37
	global_wb scope:SCOPE_SE
	s_wait_dscnt 0x0
	s_barrier_signal -1
	s_barrier_wait -1
	v_add_f32_e32 v13, v13, v12
	v_add_f32_e32 v12, v81, v80
	global_inv scope:SCOPE_SE
	s_and_saveexec_b32 s1, s0
	s_cbranch_execz .LBB0_15
; %bb.14:
	v_dual_add_f32 v49, v5, v49 :: v_dual_mul_f32 v80, 0x3f6eb680, v74
	v_mul_f32_e32 v82, 0x3f3d2fb0, v70
	v_mul_f32_e32 v94, 0xbf763a35, v79
	s_delay_alu instid0(VALU_DEP_3) | instskip(NEXT) | instid1(VALU_DEP_4)
	v_dual_mul_f32 v90, 0x3ee437d1, v33 :: v_dual_add_f32 v49, v49, v51
	v_dual_sub_f32 v77, v80, v77 :: v_dual_mul_f32 v84, 0xbf1a4643, v66
	v_mul_f32_e32 v95, 0xbf4c4adb, v79
	v_mul_f32_e32 v85, 0x3dbcf732, v62
	s_delay_alu instid0(VALU_DEP_4) | instskip(SKIP_1) | instid1(VALU_DEP_2)
	v_dual_add_f32 v49, v49, v53 :: v_dual_mul_f32 v86, 0xbf7ba420, v62
	v_mul_f32_e32 v51, 0x3ee437d1, v66
	v_add_f32_e32 v49, v49, v55
	s_delay_alu instid0(VALU_DEP_2) | instskip(NEXT) | instid1(VALU_DEP_2)
	v_dual_mul_f32 v88, 0xbf1a4643, v39 :: v_dual_sub_f32 v51, v51, v73
	v_add_f32_e32 v49, v49, v57
	s_delay_alu instid0(VALU_DEP_1) | instskip(SKIP_1) | instid1(VALU_DEP_2)
	v_dual_mul_f32 v81, 0x3f3d2fb0, v74 :: v_dual_add_f32 v40, v49, v40
	v_mul_f32_e32 v89, 0xbe8c1d8e, v39
	v_dual_mul_f32 v55, 0xbf59a7d5, v33 :: v_dual_sub_f32 v78, v81, v78
	v_fma_f32 v81, 0xbe8c1d8e, v74, -v94
	s_delay_alu instid0(VALU_DEP_4) | instskip(SKIP_2) | instid1(VALU_DEP_3)
	v_add_f32_e32 v34, v40, v34
	v_mul_f32_e32 v83, 0x3dbcf732, v70
	v_mul_f32_e32 v92, 0x3f6eb680, v29
	v_dual_add_f32 v28, v34, v28 :: v_dual_mul_f32 v91, 0xbf7ba420, v29
	v_mul_f32_e32 v87, 0xbf59a7d5, v58
	s_delay_alu instid0(VALU_DEP_2) | instskip(NEXT) | instid1(VALU_DEP_1)
	v_dual_add_f32 v28, v28, v30 :: v_dual_mul_f32 v57, 0xbf65296c, v79
	v_add_f32_e32 v28, v28, v38
	v_mul_f32_e32 v53, 0xbe8c1d8e, v58
	s_delay_alu instid0(VALU_DEP_3) | instskip(NEXT) | instid1(VALU_DEP_3)
	v_fma_f32 v80, 0x3ee437d1, v74, -v57
	v_dual_mul_f32 v49, 0xbf06c442, v79 :: v_dual_add_f32 v26, v26, v28
	v_mul_f32_e32 v93, 0xbf7ee86f, v79
	s_delay_alu instid0(VALU_DEP_4) | instskip(NEXT) | instid1(VALU_DEP_3)
	v_dual_sub_f32 v28, v83, v75 :: v_dual_sub_f32 v53, v53, v65
	v_dual_add_f32 v26, v36, v26 :: v_dual_mul_f32 v79, 0xbe3c28d5, v79
	s_delay_alu instid0(VALU_DEP_3) | instskip(SKIP_1) | instid1(VALU_DEP_3)
	v_fma_f32 v34, 0x3dbcf732, v74, -v93
	v_fmac_f32_e32 v93, 0x3dbcf732, v74
	v_dual_mul_f32 v97, 0xbe3c28d5, v71 :: v_dual_add_f32 v26, v32, v26
	v_add_f32_e32 v36, v5, v77
	s_delay_alu instid0(VALU_DEP_4)
	v_add_f32_e32 v32, v5, v34
	v_add_f32_e32 v77, v5, v78
	;; [unrolled: 1-line block ×3, first 2 shown]
	v_dual_add_f32 v80, v5, v81 :: v_dual_fmac_f32 v57, 0x3ee437d1, v74
	v_add_f32_e32 v34, v5, v93
	v_mul_f32_e32 v96, 0xbf4c4adb, v71
	v_add_f32_e32 v20, v20, v26
	v_fma_f32 v30, 0xbf1a4643, v74, -v95
	v_fmac_f32_e32 v95, 0xbf1a4643, v74
	v_add_f32_e32 v57, v5, v57
	v_fma_f32 v75, 0xbf1a4643, v70, -v96
	v_add_f32_e32 v20, v22, v20
	v_fma_f32 v98, 0xbf59a7d5, v74, -v49
	v_fmac_f32_e32 v49, 0xbf59a7d5, v74
	v_fma_f32 v38, 0xbf7ba420, v74, -v79
	v_fmac_f32_e32 v79, 0xbf7ba420, v74
	v_add_f32_e32 v26, v5, v30
	v_add_f32_e32 v30, v5, v95
	v_dual_fmac_f32 v94, 0xbe8c1d8e, v74 :: v_dual_add_f32 v49, v5, v49
	v_sub_f32_e32 v74, v82, v76
	v_add_f32_e32 v20, v24, v20
	v_dual_add_f32 v24, v75, v78 :: v_dual_mul_f32 v75, 0x3f65296c, v71
	s_delay_alu instid0(VALU_DEP_4)
	v_dual_mul_f32 v40, 0x3f06c442, v71 :: v_dual_add_f32 v81, v5, v94
	v_fma_f32 v76, 0xbf7ba420, v70, -v97
	v_add_f32_e32 v82, v5, v98
	v_add_f32_e32 v36, v74, v36
	v_fmac_f32_e32 v96, 0xbf1a4643, v70
	v_dual_add_f32 v28, v28, v77 :: v_dual_fmac_f32 v97, 0xbf7ba420, v70
	v_fma_f32 v77, 0x3ee437d1, v70, -v75
	v_fmac_f32_e32 v75, 0x3ee437d1, v70
	v_add_f32_e32 v22, v5, v38
	v_add_f32_e32 v5, v5, v79
	v_mul_f32_e32 v74, 0x3f763a35, v71
	v_dual_add_f32 v32, v76, v32 :: v_dual_mul_f32 v71, 0x3eb8f4ab, v71
	v_add_f32_e32 v38, v96, v57
	v_fma_f32 v57, 0xbf59a7d5, v70, -v40
	s_delay_alu instid0(VALU_DEP_4) | instskip(SKIP_2) | instid1(VALU_DEP_3)
	v_fma_f32 v76, 0xbe8c1d8e, v70, -v74
	v_add_f32_e32 v34, v97, v34
	v_dual_add_f32 v36, v51, v36 :: v_dual_mul_f32 v51, 0x3f763a35, v67
	v_dual_add_f32 v57, v57, v80 :: v_dual_add_f32 v26, v76, v26
	v_add_f32_e32 v76, v77, v82
	v_fmac_f32_e32 v74, 0xbe8c1d8e, v70
	v_fmac_f32_e32 v40, 0xbf59a7d5, v70
	v_fma_f32 v73, 0xbe8c1d8e, v66, -v51
	v_fmac_f32_e32 v51, 0xbe8c1d8e, v66
	s_delay_alu instid0(VALU_DEP_4)
	v_dual_add_f32 v49, v75, v49 :: v_dual_add_f32 v30, v74, v30
	v_fma_f32 v74, 0x3f6eb680, v70, -v71
	v_fmac_f32_e32 v71, 0x3f6eb680, v70
	v_mul_f32_e32 v70, 0x3e3c28d5, v67
	v_add_f32_e32 v34, v51, v34
	v_dual_add_f32 v32, v73, v32 :: v_dual_sub_f32 v37, v92, v37
	s_delay_alu instid0(VALU_DEP_4) | instskip(SKIP_3) | instid1(VALU_DEP_3)
	v_add_f32_e32 v5, v71, v5
	v_sub_f32_e32 v71, v84, v72
	v_fma_f32 v72, 0xbf7ba420, v66, -v70
	v_fmac_f32_e32 v70, 0xbf7ba420, v66
	v_dual_add_f32 v28, v71, v28 :: v_dual_mul_f32 v71, 0x3f2c7751, v67
	s_delay_alu instid0(VALU_DEP_3) | instskip(NEXT) | instid1(VALU_DEP_3)
	v_add_f32_e32 v24, v72, v24
	v_add_f32_e32 v38, v70, v38
	v_mul_f32_e32 v72, 0xbeb8f4ab, v67
	s_delay_alu instid0(VALU_DEP_4) | instskip(SKIP_1) | instid1(VALU_DEP_2)
	v_fma_f32 v70, 0x3f3d2fb0, v66, -v71
	v_fmac_f32_e32 v71, 0x3f3d2fb0, v66
	v_add_f32_e32 v51, v70, v57
	v_dual_add_f32 v40, v40, v81 :: v_dual_mul_f32 v57, 0xbf7ee86f, v67
	v_fma_f32 v70, 0x3f6eb680, v66, -v72
	s_delay_alu instid0(VALU_DEP_2) | instskip(NEXT) | instid1(VALU_DEP_3)
	v_dual_mul_f32 v67, 0xbf06c442, v67 :: v_dual_add_f32 v40, v71, v40
	v_fma_f32 v71, 0x3dbcf732, v66, -v57
	s_delay_alu instid0(VALU_DEP_3) | instskip(SKIP_1) | instid1(VALU_DEP_4)
	v_add_f32_e32 v26, v70, v26
	v_fmac_f32_e32 v57, 0x3dbcf732, v66
	v_fma_f32 v70, 0xbf59a7d5, v66, -v67
	v_fmac_f32_e32 v67, 0xbf59a7d5, v66
	v_dual_add_f32 v22, v74, v22 :: v_dual_add_f32 v71, v71, v76
	s_delay_alu instid0(VALU_DEP_4) | instskip(SKIP_1) | instid1(VALU_DEP_4)
	v_add_f32_e32 v49, v57, v49
	v_sub_f32_e32 v57, v85, v69
	v_add_f32_e32 v5, v67, v5
	v_dual_sub_f32 v67, v86, v68 :: v_dual_fmac_f32 v72, 0x3f6eb680, v66
	v_mul_f32_e32 v66, 0x3f763a35, v63
	s_delay_alu instid0(VALU_DEP_2) | instskip(SKIP_1) | instid1(VALU_DEP_3)
	v_dual_add_f32 v28, v67, v28 :: v_dual_mul_f32 v67, 0xbf65296c, v63
	v_dual_add_f32 v36, v57, v36 :: v_dual_mul_f32 v57, 0x3eb8f4ab, v63
	v_fma_f32 v68, 0xbe8c1d8e, v62, -v66
	v_fmac_f32_e32 v66, 0xbe8c1d8e, v62
	s_delay_alu instid0(VALU_DEP_3) | instskip(SKIP_1) | instid1(VALU_DEP_3)
	v_fma_f32 v69, 0x3f6eb680, v62, -v57
	v_fmac_f32_e32 v57, 0x3f6eb680, v62
	v_add_f32_e32 v38, v66, v38
	v_fma_f32 v66, 0x3ee437d1, v62, -v67
	v_dual_fmac_f32 v67, 0x3ee437d1, v62 :: v_dual_add_f32 v24, v68, v24
	s_delay_alu instid0(VALU_DEP_2) | instskip(SKIP_2) | instid1(VALU_DEP_4)
	v_dual_add_f32 v32, v69, v32 :: v_dual_add_f32 v51, v66, v51
	v_dual_add_f32 v34, v57, v34 :: v_dual_mul_f32 v57, 0x3f4c4adb, v63
	v_mul_f32_e32 v68, 0xbf06c442, v63
	v_dual_add_f32 v40, v67, v40 :: v_dual_mul_f32 v63, 0x3f2c7751, v63
	s_delay_alu instid0(VALU_DEP_3) | instskip(NEXT) | instid1(VALU_DEP_3)
	v_fma_f32 v67, 0xbf1a4643, v62, -v57
	v_fma_f32 v66, 0xbf59a7d5, v62, -v68
	v_fmac_f32_e32 v57, 0xbf1a4643, v62
	s_delay_alu instid0(VALU_DEP_3) | instskip(SKIP_1) | instid1(VALU_DEP_4)
	v_dual_add_f32 v22, v70, v22 :: v_dual_add_f32 v67, v67, v71
	v_add_f32_e32 v30, v72, v30
	v_add_f32_e32 v26, v66, v26
	v_fma_f32 v66, 0x3f3d2fb0, v62, -v63
	v_fmac_f32_e32 v63, 0x3f3d2fb0, v62
	v_add_f32_e32 v49, v57, v49
	v_mul_f32_e32 v57, 0x3f2c7751, v59
	v_fmac_f32_e32 v68, 0xbf59a7d5, v62
	s_delay_alu instid0(VALU_DEP_4) | instskip(NEXT) | instid1(VALU_DEP_3)
	v_dual_add_f32 v22, v66, v22 :: v_dual_add_f32 v5, v63, v5
	v_fma_f32 v63, 0x3f3d2fb0, v58, -v57
	s_delay_alu instid0(VALU_DEP_1) | instskip(SKIP_2) | instid1(VALU_DEP_3)
	v_dual_fmac_f32 v57, 0x3f3d2fb0, v58 :: v_dual_add_f32 v24, v24, v63
	v_dual_mul_f32 v63, 0x3f7ee86f, v59 :: v_dual_add_f32 v36, v36, v53
	v_dual_mul_f32 v53, 0xbf65296c, v59 :: v_dual_sub_f32 v62, v87, v64
	v_add_f32_e32 v38, v38, v57
	s_delay_alu instid0(VALU_DEP_2) | instskip(SKIP_1) | instid1(VALU_DEP_4)
	v_fma_f32 v64, 0x3ee437d1, v58, -v53
	v_fmac_f32_e32 v53, 0x3ee437d1, v58
	v_add_f32_e32 v28, v28, v62
	v_mul_f32_e32 v62, 0xbe3c28d5, v59
	s_delay_alu instid0(VALU_DEP_4) | instskip(NEXT) | instid1(VALU_DEP_4)
	v_add_f32_e32 v32, v32, v64
	v_dual_add_f32 v34, v34, v53 :: v_dual_mul_f32 v53, 0xbeb8f4ab, v59
	s_delay_alu instid0(VALU_DEP_3) | instskip(SKIP_1) | instid1(VALU_DEP_2)
	v_fma_f32 v57, 0xbf7ba420, v58, -v62
	v_mul_f32_e32 v59, 0xbf4c4adb, v59
	v_dual_add_f32 v51, v51, v57 :: v_dual_fmac_f32 v62, 0xbf7ba420, v58
	v_fma_f32 v57, 0x3dbcf732, v58, -v63
	v_fmac_f32_e32 v63, 0x3dbcf732, v58
	s_delay_alu instid0(VALU_DEP_3) | instskip(SKIP_2) | instid1(VALU_DEP_1)
	v_add_f32_e32 v40, v40, v62
	v_fma_f32 v62, 0x3f6eb680, v58, -v53
	v_fmac_f32_e32 v53, 0x3f6eb680, v58
	v_add_f32_e32 v49, v49, v53
	v_sub_f32_e32 v53, v88, v61
	v_add_f32_e32 v30, v68, v30
	s_delay_alu instid0(VALU_DEP_2) | instskip(SKIP_3) | instid1(VALU_DEP_4)
	v_dual_add_f32 v36, v53, v36 :: v_dual_mul_f32 v53, 0xbf06c442, v50
	v_add_f32_e32 v26, v26, v57
	v_fma_f32 v57, 0xbf1a4643, v58, -v59
	v_dual_fmac_f32 v59, 0xbf1a4643, v58 :: v_dual_sub_f32 v58, v89, v60
	v_fma_f32 v60, 0xbf59a7d5, v39, -v53
	v_fmac_f32_e32 v53, 0xbf59a7d5, v39
	v_add_f32_e32 v30, v30, v63
	s_delay_alu instid0(VALU_DEP_4) | instskip(SKIP_1) | instid1(VALU_DEP_4)
	v_dual_add_f32 v5, v5, v59 :: v_dual_add_f32 v28, v58, v28
	v_mul_f32_e32 v58, 0x3f7ee86f, v50
	v_add_f32_e32 v34, v53, v34
	v_dual_mul_f32 v53, 0xbe3c28d5, v50 :: v_dual_add_f32 v22, v22, v57
	v_dual_mul_f32 v57, 0xbeb8f4ab, v50 :: v_dual_add_f32 v32, v60, v32
	s_delay_alu instid0(VALU_DEP_1) | instskip(NEXT) | instid1(VALU_DEP_1)
	v_fma_f32 v59, 0x3f6eb680, v39, -v57
	v_dual_fmac_f32 v57, 0x3f6eb680, v39 :: v_dual_add_f32 v24, v59, v24
	s_delay_alu instid0(VALU_DEP_1) | instskip(SKIP_3) | instid1(VALU_DEP_3)
	v_add_f32_e32 v38, v57, v38
	v_fma_f32 v57, 0x3dbcf732, v39, -v58
	v_mul_f32_e32 v59, 0xbf2c7751, v50
	v_mul_f32_e32 v50, 0x3f65296c, v50
	v_dual_add_f32 v62, v67, v62 :: v_dual_add_f32 v51, v57, v51
	s_delay_alu instid0(VALU_DEP_3) | instskip(NEXT) | instid1(VALU_DEP_1)
	v_fma_f32 v57, 0x3f3d2fb0, v39, -v59
	v_dual_fmac_f32 v59, 0x3f3d2fb0, v39 :: v_dual_add_f32 v26, v57, v26
	s_delay_alu instid0(VALU_DEP_4) | instskip(SKIP_1) | instid1(VALU_DEP_1)
	v_fma_f32 v57, 0x3ee437d1, v39, -v50
	v_fmac_f32_e32 v50, 0x3ee437d1, v39
	v_dual_add_f32 v5, v50, v5 :: v_dual_fmac_f32 v58, 0x3dbcf732, v39
	v_sub_f32_e32 v50, v90, v52
	s_delay_alu instid0(VALU_DEP_2) | instskip(SKIP_2) | instid1(VALU_DEP_1)
	v_add_f32_e32 v40, v58, v40
	v_fma_f32 v58, 0xbf7ba420, v39, -v53
	v_fmac_f32_e32 v53, 0xbf7ba420, v39
	v_add_f32_e32 v39, v53, v49
	v_sub_f32_e32 v49, v55, v54
	v_mul_f32_e32 v53, 0xbf7ee86f, v35
	v_mul_f32_e32 v54, 0xbeb8f4ab, v35
	v_add_f32_e32 v28, v28, v50
	s_delay_alu instid0(VALU_DEP_4) | instskip(NEXT) | instid1(VALU_DEP_4)
	v_add_f32_e32 v36, v36, v49
	v_fma_f32 v49, 0x3dbcf732, v33, -v53
	s_delay_alu instid0(VALU_DEP_3) | instskip(SKIP_1) | instid1(VALU_DEP_3)
	v_dual_fmac_f32 v53, 0x3dbcf732, v33 :: v_dual_add_f32 v28, v37, v28
	v_dual_mul_f32 v37, 0xbf4c4adb, v23 :: v_dual_add_f32 v22, v57, v22
	v_add_f32_e32 v24, v24, v49
	v_fma_f32 v49, 0x3f6eb680, v33, -v54
	v_fmac_f32_e32 v54, 0x3f6eb680, v33
	s_delay_alu instid0(VALU_DEP_1) | instskip(SKIP_2) | instid1(VALU_DEP_2)
	v_dual_add_f32 v49, v51, v49 :: v_dual_add_f32 v40, v40, v54
	v_mul_f32_e32 v52, 0x3f4c4adb, v35
	v_add_f32_e32 v38, v38, v53
	v_fma_f32 v50, 0xbf1a4643, v33, -v52
	v_fmac_f32_e32 v52, 0xbf1a4643, v33
	s_delay_alu instid0(VALU_DEP_2) | instskip(SKIP_1) | instid1(VALU_DEP_3)
	v_add_f32_e32 v32, v32, v50
	v_mul_f32_e32 v50, 0xbe3c28d5, v35
	v_add_f32_e32 v34, v34, v52
	v_mul_f32_e32 v52, 0x3f2c7751, v35
	v_mul_f32_e32 v35, 0xbf763a35, v35
	s_delay_alu instid0(VALU_DEP_4) | instskip(SKIP_1) | instid1(VALU_DEP_4)
	v_fma_f32 v51, 0xbf7ba420, v33, -v50
	v_fmac_f32_e32 v50, 0xbf7ba420, v33
	v_fma_f32 v53, 0x3f3d2fb0, v33, -v52
	v_fmac_f32_e32 v52, 0x3f3d2fb0, v33
	s_delay_alu instid0(VALU_DEP_4) | instskip(SKIP_2) | instid1(VALU_DEP_4)
	v_add_f32_e32 v26, v26, v51
	v_fma_f32 v51, 0xbe8c1d8e, v33, -v35
	v_fmac_f32_e32 v35, 0xbe8c1d8e, v33
	v_add_f32_e32 v39, v39, v52
	v_dual_sub_f32 v33, v91, v56 :: v_dual_mul_f32 v52, 0xbf06c442, v23
	s_delay_alu instid0(VALU_DEP_3) | instskip(NEXT) | instid1(VALU_DEP_2)
	v_dual_add_f32 v30, v59, v30 :: v_dual_add_f32 v5, v5, v35
	v_dual_add_f32 v58, v58, v62 :: v_dual_add_f32 v33, v33, v36
	s_delay_alu instid0(VALU_DEP_3)
	v_fma_f32 v35, 0xbf59a7d5, v29, -v52
	v_mul_f32_e32 v36, 0x3f2c7751, v23
	v_fmac_f32_e32 v52, 0xbf59a7d5, v29
	v_add_f32_e32 v22, v22, v51
	v_fma_f32 v51, 0xbf1a4643, v29, -v37
	v_add_f32_e32 v24, v35, v24
	v_fma_f32 v35, 0x3f3d2fb0, v29, -v36
	v_fmac_f32_e32 v36, 0x3f3d2fb0, v29
	v_add_f32_e32 v38, v52, v38
	v_mul_f32_e32 v52, 0x3f65296c, v23
	s_delay_alu instid0(VALU_DEP_4) | instskip(NEXT) | instid1(VALU_DEP_4)
	v_dual_fmac_f32 v37, 0xbf1a4643, v29 :: v_dual_add_f32 v32, v35, v32
	v_dual_add_f32 v34, v36, v34 :: v_dual_add_f32 v35, v51, v49
	s_delay_alu instid0(VALU_DEP_3) | instskip(SKIP_3) | instid1(VALU_DEP_4)
	v_fma_f32 v36, 0x3ee437d1, v29, -v52
	v_mul_f32_e32 v49, 0xbf763a35, v23
	v_dual_mul_f32 v23, 0x3f7ee86f, v23 :: v_dual_add_f32 v30, v30, v50
	v_add_f32_e32 v50, v58, v53
	v_add_f32_e32 v26, v36, v26
	s_delay_alu instid0(VALU_DEP_4)
	v_fma_f32 v36, 0xbe8c1d8e, v29, -v49
	v_add_f32_e32 v37, v37, v40
	v_fma_f32 v40, 0x3dbcf732, v29, -v23
	v_fmac_f32_e32 v23, 0x3dbcf732, v29
	v_fmac_f32_e32 v52, 0x3ee437d1, v29
	v_fmac_f32_e32 v49, 0xbe8c1d8e, v29
	v_lshl_add_u32 v29, v3, 6, v0
	v_add_f32_e32 v36, v36, v50
	v_dual_add_f32 v22, v40, v22 :: v_dual_add_f32 v5, v23, v5
	s_delay_alu instid0(VALU_DEP_4)
	v_dual_add_f32 v30, v52, v30 :: v_dual_add_f32 v39, v49, v39
	ds_store_2addr_b32 v29, v20, v33 offset1:1
	ds_store_2addr_b32 v29, v28, v24 offset0:2 offset1:3
	ds_store_2addr_b32 v29, v32, v35 offset0:4 offset1:5
	;; [unrolled: 1-line block ×7, first 2 shown]
	ds_store_b32 v29, v13 offset:64
.LBB0_15:
	s_wait_alu 0xfffe
	s_or_b32 exec_lo, exec_lo, s1
	v_and_b32_e32 v5, 0xff, v3
	v_add_nc_u32_e32 v50, 0x77, v3
	v_add_nc_u32_e32 v49, 0xee, v3
	;; [unrolled: 1-line block ×3, first 2 shown]
	s_load_b64 s[2:3], s[2:3], 0x0
	v_mul_lo_u16 v20, 0xf1, v5
	v_and_b32_e32 v24, 0xff, v50
	v_and_b32_e32 v26, 0xffff, v49
	global_wb scope:SCOPE_SE
	s_wait_dscnt 0x0
	s_wait_kmcnt 0x0
	s_barrier_signal -1
	v_lshrrev_b16 v20, 12, v20
	v_mul_lo_u16 v28, 0xf1, v24
	v_mul_u32_u24_e32 v32, 0xf0f1, v26
	s_barrier_wait -1
	global_inv scope:SCOPE_SE
	v_mul_lo_u16 v29, v20, 17
	v_lshrrev_b16 v40, 12, v28
	v_lshrrev_b32_e32 v73, 20, v32
	v_and_b32_e32 v30, 0xffff, v22
	v_cmp_gt_u32_e64 s0, 17, v3
	v_sub_nc_u16 v28, v3, v29
	v_mul_lo_u16 v32, v40, 17
	s_delay_alu instid0(VALU_DEP_4) | instskip(NEXT) | instid1(VALU_DEP_3)
	v_mul_u32_u24_e32 v30, 0xf0f1, v30
	v_and_b32_e32 v74, 0xff, v28
	s_delay_alu instid0(VALU_DEP_3) | instskip(NEXT) | instid1(VALU_DEP_3)
	v_sub_nc_u16 v32, v50, v32
	v_lshrrev_b32_e32 v30, 20, v30
	s_delay_alu instid0(VALU_DEP_3) | instskip(NEXT) | instid1(VALU_DEP_3)
	v_lshlrev_b32_e32 v33, 4, v74
	v_and_b32_e32 v76, 0xff, v32
	global_load_b128 v[32:35], v33, s[4:5]
	v_add_nc_u32_e32 v23, 0x1dc, v3
	s_delay_alu instid0(VALU_DEP_1) | instskip(NEXT) | instid1(VALU_DEP_1)
	v_and_b32_e32 v29, 0xffff, v23
	v_mul_u32_u24_e32 v28, 0xf0f1, v29
	v_mul_lo_u16 v29, v73, 17
	v_mul_u32_u24_e32 v73, 0xcc, v73
	s_delay_alu instid0(VALU_DEP_3) | instskip(SKIP_1) | instid1(VALU_DEP_4)
	v_lshrrev_b32_e32 v75, 20, v28
	v_mul_lo_u16 v28, v30, 17
	v_sub_nc_u16 v29, v49, v29
	v_mul_u32_u24_e32 v30, 0xcc, v30
	s_delay_alu instid0(VALU_DEP_4) | instskip(NEXT) | instid1(VALU_DEP_4)
	v_mul_lo_u16 v36, v75, 17
	v_sub_nc_u16 v22, v22, v28
	v_lshlrev_b32_e32 v28, 4, v76
	v_mul_u32_u24_e32 v75, 0xcc, v75
	s_delay_alu instid0(VALU_DEP_4) | instskip(NEXT) | instid1(VALU_DEP_4)
	v_sub_nc_u16 v23, v23, v36
	v_and_b32_e32 v78, 0xffff, v22
	global_load_b128 v[36:39], v28, s[4:5]
	v_and_b32_e32 v77, 0xffff, v29
	s_delay_alu instid0(VALU_DEP_1) | instskip(SKIP_3) | instid1(VALU_DEP_2)
	v_lshlrev_b32_e32 v22, 4, v77
	global_load_b128 v[51:54], v22, s[4:5]
	v_and_b32_e32 v79, 0xffff, v23
	v_lshlrev_b32_e32 v23, 4, v78
	v_lshlrev_b32_e32 v22, 4, v79
	s_clause 0x1
	global_load_b128 v[55:58], v23, s[4:5]
	global_load_b128 v[59:62], v22, s[4:5]
	ds_load_2addr_b32 v[22:23], v0 offset1:119
	ds_load_2addr_b32 v[28:29], v8 offset0:92 offset1:211
	ds_load_2addr_b32 v[63:64], v11 offset0:38 offset1:157
	v_and_b32_e32 v20, 0xffff, v20
	v_and_b32_e32 v40, 0xffff, v40
	v_lshlrev_b32_e32 v74, 2, v74
	ds_load_2addr_b32 v[65:66], v25 offset0:74 offset1:193
	ds_load_2addr_b32 v[67:68], v21 offset0:110 offset1:229
	;; [unrolled: 1-line block ×4, first 2 shown]
	ds_load_b32 v80, v0 offset:6664
	v_mul_u32_u24_e32 v20, 0xcc, v20
	v_mul_u32_u24_e32 v40, 0xcc, v40
	global_wb scope:SCOPE_SE
	s_wait_loadcnt_dscnt 0x0
	s_barrier_signal -1
	s_barrier_wait -1
	v_add3_u32 v20, 0, v20, v74
	v_lshlrev_b32_e32 v74, 2, v76
	global_inv scope:SCOPE_SE
	v_add3_u32 v40, 0, v40, v74
	v_mul_f32_e32 v74, v63, v35
	v_mul_f32_e32 v35, v45, v35
	v_mul_lo_u16 v24, 0xa1, v24
	s_delay_alu instid0(VALU_DEP_3) | instskip(SKIP_2) | instid1(VALU_DEP_4)
	v_fmac_f32_e32 v74, v45, v34
	v_lshlrev_b32_e32 v76, 2, v77
	v_lshlrev_b32_e32 v77, 2, v78
	v_lshrrev_b16 v24, 13, v24
	s_delay_alu instid0(VALU_DEP_2) | instskip(SKIP_4) | instid1(VALU_DEP_4)
	v_add3_u32 v90, 0, v30, v77
	v_mul_f32_e32 v30, v29, v33
	v_mul_lo_u16 v5, 0xa1, v5
	v_mul_f32_e32 v33, v15, v33
	v_mul_lo_u16 v82, v24, 51
	v_fmac_f32_e32 v30, v15, v32
	s_delay_alu instid0(VALU_DEP_4) | instskip(NEXT) | instid1(VALU_DEP_4)
	v_lshrrev_b16 v5, 13, v5
	v_fma_f32 v15, v29, v32, -v33
	v_fma_f32 v29, v63, v34, -v35
	s_delay_alu instid0(VALU_DEP_3) | instskip(SKIP_1) | instid1(VALU_DEP_2)
	v_mul_lo_u16 v81, v5, 51
	v_mul_f32_e32 v32, v65, v37
	v_sub_nc_u16 v81, v3, v81
	v_dual_mul_f32 v33, v47, v37 :: v_dual_mul_f32 v34, v64, v39
	v_mul_f32_e32 v35, v46, v39
	v_mul_u32_u24_e32 v26, 0xa0a1, v26
	s_delay_alu instid0(VALU_DEP_4)
	v_and_b32_e32 v86, 0xff, v81
	v_sub_nc_u16 v81, v50, v82
	v_fma_f32 v33, v65, v36, -v33
	v_fma_f32 v35, v64, v38, -v35
	v_lshrrev_b32_e32 v26, 21, v26
	v_mul_f32_e32 v37, v66, v52
	v_mul_f32_e32 v39, v48, v52
	;; [unrolled: 1-line block ×3, first 2 shown]
	v_dual_mul_f32 v52, v41, v54 :: v_dual_and_b32 v89, 0xff, v81
	s_delay_alu instid0(VALU_DEP_4) | instskip(NEXT) | instid1(VALU_DEP_3)
	v_fmac_f32_e32 v37, v48, v51
	v_dual_fmac_f32 v45, v41, v53 :: v_dual_lshlrev_b32 v78, 2, v79
	v_fmac_f32_e32 v34, v46, v38
	v_mul_f32_e32 v54, v71, v56
	v_mul_f32_e32 v56, v43, v56
	v_fma_f32 v38, v69, v53, -v52
	v_fmac_f32_e32 v32, v47, v36
	v_fma_f32 v36, v66, v51, -v39
	v_add_f32_e32 v51, v18, v37
	v_add3_u32 v91, 0, v75, v78
	v_mul_f32_e32 v75, v72, v60
	v_mul_f32_e32 v63, v70, v58
	v_sub_f32_e32 v53, v36, v38
	v_mul_f32_e32 v58, v42, v58
	v_mul_f32_e32 v60, v44, v60
	v_fma_f32 v39, v71, v55, -v56
	v_dual_fmac_f32 v75, v44, v59 :: v_dual_add_f32 v44, v30, v74
	v_add_f32_e32 v47, v22, v15
	v_dual_fmac_f32 v54, v43, v55 :: v_dual_fmac_f32 v63, v42, v57
	v_fma_f32 v42, v72, v59, -v60
	v_add_f32_e32 v43, v16, v30
	v_lshlrev_b32_e32 v88, 5, v86
	v_add_f32_e32 v52, v37, v45
	v_sub_f32_e32 v37, v37, v45
	v_add_f32_e32 v59, v68, v39
	v_fma_f32 v16, -0.5, v44, v16
	v_dual_add_f32 v44, v47, v29 :: v_dual_sub_f32 v47, v33, v35
	v_fma_f32 v41, v70, v57, -v58
	v_sub_f32_e32 v46, v15, v29
	v_add_f32_e32 v15, v15, v29
	v_add_f32_e32 v29, v32, v34
	v_sub_f32_e32 v30, v30, v74
	v_add_f32_e32 v43, v43, v74
	v_add3_u32 v73, 0, v73, v76
	v_mul_f32_e32 v76, v80, v62
	v_dual_mul_f32 v62, v4, v62 :: v_dual_add_f32 v55, v67, v36
	v_fma_f32 v15, -0.5, v15, v22
	v_dual_add_f32 v22, v17, v32 :: v_dual_fmac_f32 v17, -0.5, v29
	v_sub_f32_e32 v58, v39, v41
	v_dual_add_f32 v39, v39, v41 :: v_dual_sub_f32 v32, v32, v34
	v_dual_add_f32 v48, v23, v33 :: v_dual_add_f32 v33, v33, v35
	v_add_f32_e32 v36, v36, v38
	v_add_f32_e32 v64, v28, v42
	s_delay_alu instid0(VALU_DEP_4)
	v_dual_fmac_f32 v68, -0.5, v39 :: v_dual_fmamk_f32 v39, v47, 0xbf5db3d7, v17
	v_fmac_f32_e32 v17, 0x3f5db3d7, v47
	v_fmamk_f32 v66, v46, 0xbf5db3d7, v16
	v_fmac_f32_e32 v16, 0x3f5db3d7, v46
	v_fmamk_f32 v46, v30, 0x3f5db3d7, v15
	v_dual_fmac_f32 v15, 0xbf5db3d7, v30 :: v_dual_fmac_f32 v76, v4, v61
	v_add_f32_e32 v57, v54, v63
	v_fma_f32 v4, v80, v61, -v62
	v_add_f32_e32 v56, v19, v54
	v_dual_sub_f32 v54, v54, v63 :: v_dual_add_f32 v29, v51, v45
	v_dual_add_f32 v61, v75, v76 :: v_dual_add_f32 v22, v22, v34
	v_fmac_f32_e32 v23, -0.5, v33
	v_fmac_f32_e32 v19, -0.5, v57
	s_delay_alu instid0(VALU_DEP_4)
	v_dual_fmamk_f32 v45, v54, 0x3f5db3d7, v68 :: v_dual_add_f32 v34, v48, v35
	v_fma_f32 v35, -0.5, v36, v67
	v_sub_f32_e32 v62, v42, v4
	v_add_f32_e32 v42, v42, v4
	v_sub_f32_e32 v65, v75, v76
	v_fma_f32 v18, -0.5, v52, v18
	v_mul_lo_u16 v87, v26, 51
	v_dual_add_f32 v60, v14, v75 :: v_dual_add_f32 v33, v55, v38
	v_fmac_f32_e32 v14, -0.5, v61
	v_fmac_f32_e32 v28, -0.5, v42
	v_dual_add_f32 v36, v59, v41 :: v_dual_fmamk_f32 v41, v32, 0x3f5db3d7, v23
	v_fmac_f32_e32 v23, 0xbf5db3d7, v32
	v_add_f32_e32 v4, v64, v4
	v_fmamk_f32 v32, v53, 0xbf5db3d7, v18
	v_fmamk_f32 v42, v37, 0x3f5db3d7, v35
	v_dual_fmac_f32 v35, 0xbf5db3d7, v37 :: v_dual_add_f32 v30, v56, v63
	v_dual_fmamk_f32 v47, v62, 0xbf5db3d7, v14 :: v_dual_add_f32 v38, v60, v76
	v_fmac_f32_e32 v18, 0x3f5db3d7, v53
	v_fmamk_f32 v37, v58, 0xbf5db3d7, v19
	v_fmac_f32_e32 v19, 0x3f5db3d7, v58
	v_fmac_f32_e32 v14, 0x3f5db3d7, v62
	ds_store_2addr_b32 v20, v43, v66 offset1:17
	ds_store_b32 v20, v16 offset:136
	ds_store_2addr_b32 v40, v22, v39 offset1:17
	ds_store_b32 v40, v17 offset:136
	;; [unrolled: 2-line block ×5, first 2 shown]
	global_wb scope:SCOPE_SE
	s_wait_dscnt 0x0
	s_barrier_signal -1
	s_barrier_wait -1
	global_inv scope:SCOPE_SE
	ds_load_2addr_b32 v[29:30], v0 offset1:119
	ds_load_2addr_b32 v[74:75], v21 offset0:110 offset1:229
	ds_load_2addr_b32 v[76:77], v25 offset0:74 offset1:193
	;; [unrolled: 1-line block ×6, first 2 shown]
	ds_load_b32 v32, v0 offset:6664
	v_fmac_f32_e32 v68, 0xbf5db3d7, v54
	v_fmamk_f32 v48, v65, 0x3f5db3d7, v28
	v_fmac_f32_e32 v28, 0xbf5db3d7, v65
	global_wb scope:SCOPE_SE
	s_wait_dscnt 0x0
	s_barrier_signal -1
	s_barrier_wait -1
	global_inv scope:SCOPE_SE
	ds_store_2addr_b32 v20, v44, v46 offset1:17
	ds_store_b32 v20, v15 offset:136
	ds_store_2addr_b32 v40, v34, v41 offset1:17
	ds_store_b32 v40, v23 offset:136
	;; [unrolled: 2-line block ×5, first 2 shown]
	v_sub_nc_u16 v4, v49, v87
	global_wb scope:SCOPE_SE
	s_wait_dscnt 0x0
	s_barrier_signal -1
	s_barrier_wait -1
	global_inv scope:SCOPE_SE
	global_load_b128 v[15:18], v88, s[4:5] offset:272
	v_and_b32_e32 v19, 0xffff, v4
	v_lshlrev_b32_e32 v14, 5, v89
	global_load_b128 v[37:40], v88, s[4:5] offset:288
	v_lshlrev_b32_e32 v4, 5, v19
	s_clause 0x3
	global_load_b128 v[43:46], v14, s[4:5] offset:272
	global_load_b128 v[62:65], v14, s[4:5] offset:288
	;; [unrolled: 1-line block ×4, first 2 shown]
	ds_load_2addr_b32 v[22:23], v25 offset0:74 offset1:193
	ds_load_2addr_b32 v[90:91], v8 offset0:92 offset1:211
	;; [unrolled: 1-line block ×3, first 2 shown]
	v_lshlrev_b32_e32 v19, 2, v19
	s_wait_loadcnt_dscnt 0x502
	v_mul_f32_e32 v57, v22, v18
	s_delay_alu instid0(VALU_DEP_1)
	v_dual_fmac_f32 v57, v76, v17 :: v_dual_and_b32 v14, 0xffff, v24
	v_mul_u32_u24_e32 v24, 0x3fc, v26
	v_lshlrev_b32_e32 v26, 2, v86
	ds_load_2addr_b32 v[86:87], v27 offset0:56 offset1:175
	s_wait_loadcnt_dscnt 0x102
	v_dual_mul_f32 v41, v91, v67 :: v_dual_and_b32 v4, 0xffff, v5
	s_wait_loadcnt_dscnt 0x1
	v_mul_f32_e32 v36, v93, v71
	v_mul_f32_e32 v51, v92, v63
	;; [unrolled: 1-line block ×3, first 2 shown]
	v_fmac_f32_e32 v41, v83, v66
	v_mul_u32_u24_e32 v20, 0x3fc, v4
	ds_load_2addr_b32 v[4:5], v21 offset0:110 offset1:229
	v_mul_f32_e32 v52, v90, v44
	v_fmac_f32_e32 v36, v85, v70
	v_mul_f32_e32 v48, v23, v46
	v_fmac_f32_e32 v51, v84, v62
	;; [unrolled: 2-line block ×3, first 2 shown]
	s_delay_alu instid0(VALU_DEP_2) | instskip(SKIP_3) | instid1(VALU_DEP_2)
	v_fma_f32 v60, v22, v17, -v18
	s_wait_dscnt 0x1
	v_mul_f32_e32 v59, v87, v38
	v_mul_f32_e32 v35, v86, v69
	v_fmac_f32_e32 v59, v79, v37
	s_delay_alu instid0(VALU_DEP_2) | instskip(SKIP_2) | instid1(VALU_DEP_1)
	v_dual_fmac_f32 v48, v77, v45 :: v_dual_fmac_f32 v35, v78, v68
	v_add3_u32 v34, 0, v20, v26
	v_mul_f32_e32 v26, v79, v38
	v_fma_f32 v54, v87, v37, -v26
	s_wait_dscnt 0x0
	s_delay_alu instid0(VALU_DEP_1) | instskip(NEXT) | instid1(VALU_DEP_1)
	v_dual_mul_f32 v56, v5, v16 :: v_dual_sub_f32 v17, v60, v54
	v_fmac_f32_e32 v56, v75, v15
	v_lshlrev_b32_e32 v28, 2, v89
	ds_load_2addr_b32 v[88:89], v31 offset0:20 offset1:139
	s_wait_dscnt 0x0
	v_mul_f32_e32 v61, v88, v40
	v_mul_f32_e32 v53, v89, v65
	;; [unrolled: 1-line block ×4, first 2 shown]
	s_delay_alu instid0(VALU_DEP_4) | instskip(NEXT) | instid1(VALU_DEP_4)
	v_dual_fmac_f32 v61, v80, v39 :: v_dual_mul_f32 v16, v75, v16
	v_fmac_f32_e32 v53, v81, v64
	v_mul_f32_e32 v38, v82, v44
	s_delay_alu instid0(VALU_DEP_3) | instskip(SKIP_4) | instid1(VALU_DEP_4)
	v_fma_f32 v58, v5, v15, -v16
	v_add_f32_e32 v15, v57, v59
	v_mul_u32_u24_e32 v14, 0x3fc, v14
	v_add_f32_e32 v5, v29, v56
	v_fma_f32 v43, v90, v43, -v38
	v_fma_f32 v15, -0.5, v15, v29
	s_delay_alu instid0(VALU_DEP_4)
	v_add3_u32 v33, 0, v14, v28
	v_add3_u32 v14, 0, v24, v19
	ds_load_2addr_b32 v[19:20], v0 offset1:119
	ds_load_b32 v24, v0 offset:6664
	v_mul_f32_e32 v28, v80, v40
	v_mul_f32_e32 v40, v77, v46
	;; [unrolled: 1-line block ×5, first 2 shown]
	v_add_f32_e32 v78, v5, v57
	global_wb scope:SCOPE_SE
	s_wait_dscnt 0x0
	s_barrier_signal -1
	v_fma_f32 v38, v91, v66, -v63
	v_sub_f32_e32 v63, v52, v48
	s_barrier_wait -1
	global_inv scope:SCOPE_SE
	v_fma_f32 v37, v24, v72, -v69
	v_add_f32_e32 v69, v35, v36
	v_fma_f32 v44, v23, v45, -v40
	v_fma_f32 v45, v92, v62, -v46
	;; [unrolled: 1-line block ×4, first 2 shown]
	v_add_f32_e32 v23, v56, v61
	v_sub_f32_e32 v67, v51, v53
	v_fma_f32 v5, -0.5, v69, v74
	v_sub_f32_e32 v47, v43, v46
	v_fma_f32 v55, v88, v39, -v28
	v_fma_f32 v39, v86, v68, -v65
	v_sub_f32_e32 v62, v44, v45
	v_sub_f32_e32 v18, v56, v57
	v_add_f32_e32 v28, v30, v52
	s_delay_alu instid0(VALU_DEP_4) | instskip(SKIP_2) | instid1(VALU_DEP_3)
	v_dual_sub_f32 v71, v39, v40 :: v_dual_sub_f32 v22, v61, v59
	v_sub_f32_e32 v66, v48, v52
	v_mul_f32_e32 v42, v24, v73
	v_add_f32_e32 v18, v18, v22
	v_fma_f32 v22, -0.5, v23, v29
	s_delay_alu instid0(VALU_DEP_4) | instskip(NEXT) | instid1(VALU_DEP_2)
	v_add_f32_e32 v29, v66, v67
	v_dual_sub_f32 v16, v58, v55 :: v_dual_fmamk_f32 v67, v17, 0x3f737871, v22
	v_sub_f32_e32 v26, v59, v61
	s_delay_alu instid0(VALU_DEP_2)
	v_fmamk_f32 v66, v16, 0xbf737871, v15
	v_fmac_f32_e32 v15, 0x3f737871, v16
	v_fmac_f32_e32 v22, 0xbf737871, v17
	v_dual_fmac_f32 v67, 0xbf167918, v16 :: v_dual_sub_f32 v70, v38, v37
	v_fmac_f32_e32 v42, v32, v72
	v_sub_f32_e32 v64, v53, v51
	v_dual_sub_f32 v72, v41, v35 :: v_dual_fmac_f32 v15, 0x3f167918, v17
	s_delay_alu instid0(VALU_DEP_3) | instskip(SKIP_2) | instid1(VALU_DEP_4)
	v_dual_add_f32 v68, v74, v41 :: v_dual_sub_f32 v77, v36, v42
	v_sub_f32_e32 v24, v57, v56
	v_sub_f32_e32 v73, v42, v36
	v_fmac_f32_e32 v15, 0x3e9e377a, v18
	v_fmac_f32_e32 v66, 0xbf167918, v17
	s_delay_alu instid0(VALU_DEP_4) | instskip(SKIP_3) | instid1(VALU_DEP_4)
	v_dual_fmac_f32 v22, 0x3f167918, v16 :: v_dual_add_f32 v23, v24, v26
	v_add_f32_e32 v24, v28, v48
	v_dual_add_f32 v28, v63, v64 :: v_dual_add_f32 v63, v72, v73
	v_add_f32_e32 v65, v52, v53
	v_fmac_f32_e32 v67, 0x3e9e377a, v23
	v_fmamk_f32 v72, v70, 0xbf737871, v5
	v_fmac_f32_e32 v5, 0x3f737871, v70
	v_dual_add_f32 v75, v41, v42 :: v_dual_add_f32 v24, v24, v51
	v_fmac_f32_e32 v66, 0x3e9e377a, v18
	s_delay_alu instid0(VALU_DEP_4) | instskip(NEXT) | instid1(VALU_DEP_4)
	v_fmac_f32_e32 v72, 0xbf167918, v71
	v_fmac_f32_e32 v5, 0x3f167918, v71
	s_delay_alu instid0(VALU_DEP_4) | instskip(SKIP_2) | instid1(VALU_DEP_4)
	v_fmac_f32_e32 v74, -0.5, v75
	v_sub_f32_e32 v76, v35, v41
	v_fmac_f32_e32 v22, 0x3e9e377a, v23
	v_dual_add_f32 v16, v24, v53 :: v_dual_fmac_f32 v5, 0x3e9e377a, v63
	s_delay_alu instid0(VALU_DEP_4) | instskip(NEXT) | instid1(VALU_DEP_4)
	v_dual_fmamk_f32 v73, v71, 0x3f737871, v74 :: v_dual_add_f32 v32, v48, v51
	v_add_f32_e32 v64, v76, v77
	v_fmac_f32_e32 v74, 0xbf737871, v71
	v_fmac_f32_e32 v72, 0x3e9e377a, v63
	s_delay_alu instid0(VALU_DEP_4)
	v_fmac_f32_e32 v73, 0xbf167918, v70
	v_fma_f32 v26, -0.5, v32, v30
	v_fmac_f32_e32 v30, -0.5, v65
	v_add_f32_e32 v32, v68, v35
	v_fmac_f32_e32 v74, 0x3f167918, v70
	v_fmac_f32_e32 v73, 0x3e9e377a, v64
	v_fmamk_f32 v68, v47, 0xbf737871, v26
	v_fmamk_f32 v69, v62, 0x3f737871, v30
	v_fmac_f32_e32 v26, 0x3f737871, v47
	v_dual_add_f32 v65, v78, v59 :: v_dual_add_f32 v32, v32, v36
	v_fmac_f32_e32 v74, 0x3e9e377a, v64
	s_delay_alu instid0(VALU_DEP_4) | instskip(SKIP_3) | instid1(VALU_DEP_3)
	v_fmac_f32_e32 v69, 0xbf167918, v47
	v_fmac_f32_e32 v30, 0xbf737871, v62
	;; [unrolled: 1-line block ×3, first 2 shown]
	v_dual_fmac_f32 v26, 0x3f167918, v62 :: v_dual_add_f32 v65, v65, v61
	v_dual_add_f32 v17, v32, v42 :: v_dual_fmac_f32 v30, 0x3f167918, v47
	s_delay_alu instid0(VALU_DEP_3) | instskip(NEXT) | instid1(VALU_DEP_3)
	v_fmac_f32_e32 v68, 0x3e9e377a, v28
	v_dual_fmac_f32 v26, 0x3e9e377a, v28 :: v_dual_fmac_f32 v69, 0x3e9e377a, v29
                                        ; implicit-def: $vgpr47
	s_delay_alu instid0(VALU_DEP_3)
	v_fmac_f32_e32 v30, 0x3e9e377a, v29
	ds_store_2addr_b32 v34, v65, v66 offset1:51
	ds_store_2addr_b32 v34, v67, v22 offset0:102 offset1:153
	ds_store_b32 v34, v15 offset:816
	ds_store_2addr_b32 v33, v16, v68 offset1:51
	ds_store_2addr_b32 v33, v69, v30 offset0:102 offset1:153
	ds_store_b32 v33, v26 offset:816
	;; [unrolled: 3-line block ×3, first 2 shown]
	global_wb scope:SCOPE_SE
	s_wait_dscnt 0x0
	s_barrier_signal -1
	s_barrier_wait -1
	global_inv scope:SCOPE_SE
	ds_load_2addr_b32 v[17:18], v0 offset1:119
	ds_load_2addr_b32 v[23:24], v21 offset0:127 offset1:246
	ds_load_2addr_b32 v[21:22], v8 offset0:126 offset1:245
	;; [unrolled: 1-line block ×6, first 2 shown]
                                        ; implicit-def: $vgpr15
	s_and_saveexec_b32 s1, s0
	s_cbranch_execz .LBB0_17
; %bb.16:
	v_add_nc_u32_e32 v5, 0x3b8, v0
	v_add_nc_u32_e32 v7, 0xbb0, v0
	;; [unrolled: 1-line block ×3, first 2 shown]
	ds_load_2addr_b32 v[5:6], v5 offset1:255
	ds_load_2addr_b32 v[7:8], v7 offset1:255
	;; [unrolled: 1-line block ×3, first 2 shown]
	ds_load_b32 v47, v0 offset:7072
.LBB0_17:
	s_wait_alu 0xfffe
	s_or_b32 exec_lo, exec_lo, s1
	v_dual_add_f32 v62, v19, v58 :: v_dual_sub_f32 v57, v57, v59
	v_add_f32_e32 v11, v60, v54
	v_dual_sub_f32 v56, v56, v61 :: v_dual_sub_f32 v59, v58, v60
	v_dual_add_f32 v63, v58, v55 :: v_dual_sub_f32 v58, v60, v58
	s_delay_alu instid0(VALU_DEP_4) | instskip(NEXT) | instid1(VALU_DEP_4)
	v_add_f32_e32 v62, v62, v60
	v_fma_f32 v61, -0.5, v11, v19
	v_sub_f32_e32 v11, v55, v54
	s_delay_alu instid0(VALU_DEP_4) | instskip(SKIP_1) | instid1(VALU_DEP_3)
	v_fma_f32 v19, -0.5, v63, v19
	v_dual_sub_f32 v48, v48, v51 :: v_dual_sub_f32 v51, v43, v44
	v_dual_fmamk_f32 v60, v56, 0x3f737871, v61 :: v_dual_add_f32 v11, v59, v11
	s_delay_alu instid0(VALU_DEP_3) | instskip(SKIP_1) | instid1(VALU_DEP_2)
	v_dual_add_f32 v59, v62, v54 :: v_dual_fmamk_f32 v62, v57, 0xbf737871, v19
	v_dual_fmac_f32 v61, 0xbf737871, v56 :: v_dual_sub_f32 v54, v54, v55
	v_dual_fmac_f32 v60, 0x3f167918, v57 :: v_dual_add_f32 v55, v59, v55
	s_delay_alu instid0(VALU_DEP_3) | instskip(NEXT) | instid1(VALU_DEP_3)
	v_fmac_f32_e32 v62, 0x3f167918, v56
	v_dual_fmac_f32 v61, 0xbf167918, v57 :: v_dual_add_f32 v54, v58, v54
	s_delay_alu instid0(VALU_DEP_3) | instskip(SKIP_1) | instid1(VALU_DEP_3)
	v_dual_fmac_f32 v60, 0x3e9e377a, v11 :: v_dual_add_f32 v59, v44, v45
	v_fmac_f32_e32 v19, 0x3f737871, v57
	v_dual_add_f32 v57, v20, v43 :: v_dual_fmac_f32 v62, 0x3e9e377a, v54
	s_delay_alu instid0(VALU_DEP_4) | instskip(NEXT) | instid1(VALU_DEP_4)
	v_dual_sub_f32 v52, v52, v53 :: v_dual_fmac_f32 v61, 0x3e9e377a, v11
	v_fma_f32 v58, -0.5, v59, v20
	s_delay_alu instid0(VALU_DEP_3) | instskip(SKIP_3) | instid1(VALU_DEP_3)
	v_add_f32_e32 v11, v57, v44
	v_add_f32_e32 v57, v43, v46
	v_dual_fmac_f32 v19, 0xbf167918, v56 :: v_dual_sub_f32 v56, v46, v45
	v_dual_sub_f32 v43, v44, v43 :: v_dual_sub_f32 v44, v45, v46
	v_fmac_f32_e32 v20, -0.5, v57
	v_add_f32_e32 v11, v11, v45
	v_fmamk_f32 v53, v52, 0x3f737871, v58
	v_dual_fmac_f32 v58, 0xbf737871, v52 :: v_dual_sub_f32 v41, v41, v42
	v_add_f32_e32 v51, v51, v56
	v_dual_fmac_f32 v19, 0x3e9e377a, v54 :: v_dual_add_f32 v42, v43, v44
	s_delay_alu instid0(VALU_DEP_3)
	v_dual_fmac_f32 v58, 0xbf167918, v48 :: v_dual_add_f32 v45, v4, v38
	v_sub_f32_e32 v35, v35, v36
	global_wb scope:SCOPE_SE
	s_wait_dscnt 0x0
	s_barrier_signal -1
	v_fmac_f32_e32 v58, 0x3e9e377a, v51
	v_add_f32_e32 v54, v11, v46
	v_add_f32_e32 v11, v39, v40
	;; [unrolled: 1-line block ×4, first 2 shown]
	v_fmac_f32_e32 v53, 0x3f167918, v48
	s_barrier_wait -1
	v_fma_f32 v11, -0.5, v11, v4
	v_add_f32_e32 v36, v43, v40
	v_dual_fmac_f32 v4, -0.5, v45 :: v_dual_sub_f32 v43, v37, v40
	global_inv scope:SCOPE_SE
	v_fmamk_f32 v44, v41, 0x3f737871, v11
	v_fmac_f32_e32 v53, 0x3e9e377a, v51
	v_fmamk_f32 v51, v48, 0xbf737871, v20
	v_fmac_f32_e32 v20, 0x3f737871, v48
	v_add_f32_e32 v36, v36, v37
                                        ; implicit-def: $vgpr48
	s_delay_alu instid0(VALU_DEP_3) | instskip(NEXT) | instid1(VALU_DEP_3)
	v_fmac_f32_e32 v51, 0x3f167918, v52
	v_fmac_f32_e32 v20, 0xbf167918, v52
	s_delay_alu instid0(VALU_DEP_2) | instskip(NEXT) | instid1(VALU_DEP_2)
	v_fmac_f32_e32 v51, 0x3e9e377a, v42
	v_fmac_f32_e32 v20, 0x3e9e377a, v42
	v_dual_sub_f32 v42, v38, v39 :: v_dual_fmac_f32 v11, 0xbf737871, v41
	v_dual_sub_f32 v38, v39, v38 :: v_dual_sub_f32 v39, v40, v37
	s_delay_alu instid0(VALU_DEP_2)
	v_dual_add_f32 v40, v42, v43 :: v_dual_fmamk_f32 v45, v35, 0xbf737871, v4
	v_fmac_f32_e32 v4, 0x3f737871, v35
	v_fmac_f32_e32 v44, 0x3f167918, v35
	;; [unrolled: 1-line block ×3, first 2 shown]
	v_add_f32_e32 v35, v38, v39
	v_fmac_f32_e32 v45, 0x3f167918, v41
	v_fmac_f32_e32 v4, 0xbf167918, v41
	;; [unrolled: 1-line block ×4, first 2 shown]
	s_delay_alu instid0(VALU_DEP_4) | instskip(NEXT) | instid1(VALU_DEP_4)
	v_fmac_f32_e32 v45, 0x3e9e377a, v35
	v_fmac_f32_e32 v4, 0x3e9e377a, v35
	ds_store_2addr_b32 v34, v55, v60 offset1:51
	ds_store_2addr_b32 v34, v62, v19 offset0:102 offset1:153
	ds_store_b32 v34, v61 offset:816
	ds_store_2addr_b32 v33, v54, v53 offset1:51
	ds_store_2addr_b32 v33, v51, v20 offset0:102 offset1:153
	ds_store_b32 v33, v58 offset:816
	;; [unrolled: 3-line block ×3, first 2 shown]
	v_add_nc_u32_e32 v4, 0x200, v0
	global_wb scope:SCOPE_SE
	s_wait_dscnt 0x0
	s_barrier_signal -1
	s_barrier_wait -1
	global_inv scope:SCOPE_SE
	ds_load_2addr_b32 v[33:34], v0 offset1:119
	ds_load_2addr_b32 v[35:36], v4 offset0:127 offset1:246
	v_add_nc_u32_e32 v4, 0x600, v0
	v_add_nc_u32_e32 v14, 0xa00, v0
	;; [unrolled: 1-line block ×5, first 2 shown]
	ds_load_2addr_b32 v[37:38], v4 offset0:126 offset1:245
	ds_load_2addr_b32 v[39:40], v14 offset0:125 offset1:244
	;; [unrolled: 1-line block ×5, first 2 shown]
                                        ; implicit-def: $vgpr19
	s_and_saveexec_b32 s1, s0
	s_cbranch_execz .LBB0_19
; %bb.18:
	v_add_nc_u32_e32 v4, 0x3b8, v0
	v_add_nc_u32_e32 v13, 0xbb0, v0
	;; [unrolled: 1-line block ×3, first 2 shown]
	ds_load_2addr_b32 v[11:12], v4 offset1:255
	ds_load_2addr_b32 v[13:14], v13 offset1:255
	;; [unrolled: 1-line block ×3, first 2 shown]
	ds_load_b32 v48, v0 offset:7072
.LBB0_19:
	s_wait_alu 0xfffe
	s_or_b32 exec_lo, exec_lo, s1
	s_and_saveexec_b32 s1, vcc_lo
	s_cbranch_execz .LBB0_22
; %bb.20:
	v_mul_u32_u24_e32 v0, 6, v50
	v_mul_u32_u24_e32 v4, 6, v3
	v_mul_hi_u32 v50, 0x80808081, v50
	s_delay_alu instid0(VALU_DEP_3)
	v_lshlrev_b32_e32 v0, 3, v0
	s_clause 0x2
	global_load_b128 v[51:54], v0, s[4:5] offset:1904
	global_load_b128 v[55:58], v0, s[4:5] offset:1936
	;; [unrolled: 1-line block ×3, first 2 shown]
	v_lshlrev_b32_e32 v0, 3, v4
	v_mul_lo_u32 v4, s2, v10
	s_clause 0x2
	global_load_b128 v[63:66], v0, s[4:5] offset:1904
	global_load_b128 v[67:70], v0, s[4:5] offset:1936
	;; [unrolled: 1-line block ×3, first 2 shown]
	v_mul_lo_u32 v0, s3, v9
	v_mad_co_u64_u32 v[9:10], null, s2, v9, 0
	s_delay_alu instid0(VALU_DEP_1) | instskip(SKIP_3) | instid1(VALU_DEP_4)
	v_add3_u32 v10, v10, v4, v0
	v_mov_b32_e32 v4, 0
	v_lshlrev_b64_e32 v[0:1], 3, v[1:2]
	v_lshrrev_b32_e32 v2, 7, v50
	v_lshlrev_b64_e32 v[9:10], 3, v[9:10]
	s_delay_alu instid0(VALU_DEP_2) | instskip(NEXT) | instid1(VALU_DEP_2)
	v_mul_u32_u24_e32 v77, 0x5fa, v2
	v_add_co_u32 v9, vcc_lo, s10, v9
	s_wait_alu 0xfffd
	s_delay_alu instid0(VALU_DEP_3) | instskip(NEXT) | instid1(VALU_DEP_2)
	v_add_co_ci_u32_e32 v10, vcc_lo, s11, v10, vcc_lo
	v_add_co_u32 v0, vcc_lo, v9, v0
	s_wait_alu 0xfffd
	s_delay_alu instid0(VALU_DEP_2)
	v_add_co_ci_u32_e32 v1, vcc_lo, v10, v1, vcc_lo
	s_wait_loadcnt 0x5
	v_mul_f32_e32 v2, v24, v51
	s_wait_loadcnt 0x4
	v_mul_f32_e32 v50, v32, v57
	v_mul_f32_e32 v32, v32, v58
	s_wait_loadcnt 0x2
	v_dual_mul_f32 v24, v24, v52 :: v_dual_mul_f32 v79, v23, v63
	v_lshlrev_b64_e32 v[75:76], 3, v[3:4]
	s_wait_loadcnt 0x0
	v_dual_mov_b32 v78, v4 :: v_dual_mul_f32 v81, v27, v73
	s_wait_dscnt 0x5
	v_dual_mul_f32 v83, v21, v65 :: v_dual_fmac_f32 v2, v36, v52
	v_mul_f32_e32 v27, v27, v74
	v_add_co_u32 v0, vcc_lo, v0, v75
	s_wait_dscnt 0x4
	s_delay_alu instid0(VALU_DEP_3)
	v_fmac_f32_e32 v83, v37, v66
	s_wait_alu 0xfffd
	v_add_co_ci_u32_e32 v1, vcc_lo, v1, v76, vcc_lo
	v_dual_mul_f32 v75, v28, v61 :: v_dual_mul_f32 v76, v26, v59
	v_mul_f32_e32 v23, v23, v64
	v_mul_f32_e32 v80, v31, v69
	;; [unrolled: 1-line block ×3, first 2 shown]
	s_wait_dscnt 0x2
	v_fmac_f32_e32 v75, v42, v62
	v_lshlrev_b64_e32 v[9:10], 3, v[77:78]
	v_mul_f32_e32 v77, v22, v53
	v_mul_f32_e32 v78, v30, v55
	v_dual_mul_f32 v26, v26, v60 :: v_dual_mul_f32 v21, v21, v66
	s_wait_dscnt 0x0
	v_fma_f32 v31, v45, v69, -v31
	v_fma_f32 v23, v35, v63, -v23
	v_fmac_f32_e32 v50, v46, v58
	v_mul_f32_e32 v84, v29, v67
	v_mul_f32_e32 v29, v29, v68
	v_dual_mul_f32 v82, v25, v71 :: v_dual_fmac_f32 v77, v38, v54
	v_mul_f32_e32 v25, v25, v72
	v_fma_f32 v21, v37, v65, -v21
	s_delay_alu instid0(VALU_DEP_4)
	v_fma_f32 v29, v43, v67, -v29
	v_fmac_f32_e32 v78, v44, v56
	v_dual_mul_f32 v28, v28, v62 :: v_dual_fmac_f32 v79, v35, v64
	v_dual_mul_f32 v30, v30, v56 :: v_dual_fmac_f32 v81, v41, v74
	v_dual_sub_f32 v35, v2, v50 :: v_dual_fmac_f32 v84, v43, v68
	v_fmac_f32_e32 v80, v45, v70
	v_dual_add_f32 v45, v21, v29 :: v_dual_fmac_f32 v76, v40, v60
	v_sub_f32_e32 v37, v77, v78
	v_mul_f32_e32 v22, v22, v54
	v_fma_f32 v24, v36, v51, -v24
	v_fma_f32 v26, v40, v59, -v26
	v_fma_f32 v28, v42, v61, -v28
	v_fma_f32 v30, v44, v55, -v30
	v_fma_f32 v27, v41, v73, -v27
	v_add_f32_e32 v41, v75, v76
	v_fma_f32 v22, v38, v53, -v22
	v_add_f32_e32 v42, v77, v78
	v_sub_f32_e32 v36, v75, v76
	v_fma_f32 v32, v46, v57, -v32
	v_fmac_f32_e32 v82, v39, v72
	v_fma_f32 v25, v39, v71, -v25
	v_add_f32_e32 v39, v28, v26
	v_dual_add_f32 v40, v22, v30 :: v_dual_sub_f32 v21, v21, v29
	v_sub_f32_e32 v55, v41, v42
	v_sub_f32_e32 v29, v36, v37
	v_add_f32_e32 v38, v24, v32
	v_sub_f32_e32 v24, v24, v32
	v_dual_sub_f32 v22, v22, v30 :: v_dual_add_f32 v43, v23, v31
	v_add_f32_e32 v2, v2, v50
	v_add_f32_e32 v44, v27, v25
	;; [unrolled: 1-line block ×3, first 2 shown]
	v_sub_f32_e32 v23, v23, v31
	v_dual_sub_f32 v25, v27, v25 :: v_dual_sub_f32 v26, v28, v26
	v_add_f32_e32 v53, v38, v40
	v_add_f32_e32 v46, v79, v80
	v_sub_f32_e32 v27, v35, v36
	v_dual_add_f32 v31, v36, v37 :: v_dual_sub_f32 v52, v39, v40
	v_mul_f32_e32 v29, 0x3f08b237, v29
	v_dual_sub_f32 v37, v37, v35 :: v_dual_sub_f32 v28, v79, v80
	v_sub_f32_e32 v57, v24, v26
	v_dual_sub_f32 v30, v81, v82 :: v_dual_sub_f32 v59, v43, v44
	v_dual_add_f32 v50, v81, v82 :: v_dual_add_f32 v61, v43, v45
	v_sub_f32_e32 v32, v83, v84
	v_dual_sub_f32 v36, v38, v39 :: v_dual_sub_f32 v65, v23, v25
	v_dual_add_f32 v56, v2, v42 :: v_dual_add_f32 v31, v35, v31
	s_delay_alu instid0(VALU_DEP_2)
	v_dual_sub_f32 v58, v26, v22 :: v_dual_mul_f32 v35, 0x3f4a47b2, v36
	v_add_f32_e32 v26, v26, v22
	v_sub_f32_e32 v66, v25, v21
	v_dual_add_f32 v25, v25, v21 :: v_dual_add_f32 v64, v46, v51
	v_fmamk_f32 v67, v27, 0xbeae86e6, v29
	v_fma_f32 v29, 0xbf5ff5aa, v37, -v29
	v_sub_f32_e32 v54, v2, v41
	v_dual_sub_f32 v38, v40, v38 :: v_dual_add_f32 v39, v39, v53
	v_dual_sub_f32 v2, v42, v2 :: v_dual_mul_f32 v53, 0x3d64c772, v55
	v_dual_sub_f32 v40, v22, v24 :: v_dual_mul_f32 v55, 0x3f08b237, v58
	v_dual_sub_f32 v42, v28, v30 :: v_dual_add_f32 v41, v41, v56
	v_sub_f32_e32 v62, v46, v50
	v_sub_f32_e32 v63, v50, v51
	v_sub_f32_e32 v22, v30, v32
	v_add_f32_e32 v30, v30, v32
	v_dual_sub_f32 v32, v32, v28 :: v_dual_sub_f32 v43, v45, v43
	v_dual_sub_f32 v60, v44, v45 :: v_dual_sub_f32 v45, v51, v46
	v_dual_mul_f32 v51, 0x3d64c772, v52 :: v_dual_add_f32 v24, v24, v26
	v_dual_fmac_f32 v67, 0xbee1c552, v31 :: v_dual_add_f32 v50, v50, v64
	v_fmac_f32_e32 v29, 0xbee1c552, v31
	v_mul_f32_e32 v26, 0xbf5ff5aa, v37
	v_mul_f32_e32 v63, 0x3d64c772, v63
	v_dual_sub_f32 v46, v21, v23 :: v_dual_add_f32 v21, v18, v41
	v_dual_add_f32 v44, v44, v61 :: v_dual_add_f32 v17, v17, v50
	s_delay_alu instid0(VALU_DEP_4) | instskip(SKIP_1) | instid1(VALU_DEP_4)
	v_fma_f32 v68, 0x3eae86e6, v27, -v26
	v_add_f32_e32 v23, v23, v25
	v_fmamk_f32 v41, v41, 0xbf955555, v21
	v_fma_f32 v37, 0xbf5ff5aa, v40, -v55
	v_dual_add_f32 v18, v33, v44 :: v_dual_fmamk_f32 v33, v62, 0x3f4a47b2, v63
	v_fmac_f32_e32 v68, 0xbee1c552, v31
	v_fmamk_f32 v31, v50, 0xbf955555, v17
	s_delay_alu instid0(VALU_DEP_4)
	v_fmac_f32_e32 v37, 0xbee1c552, v24
	v_mul_f32_e32 v56, 0xbf5ff5aa, v40
	v_mul_f32_e32 v52, 0x3f4a47b2, v54
	;; [unrolled: 1-line block ×4, first 2 shown]
	v_fma_f32 v26, 0xbf3bfb3b, v38, -v35
	v_fma_f32 v35, 0x3eae86e6, v57, -v56
	v_mul_f32_e32 v61, 0x3f4a47b2, v62
	v_fma_f32 v27, 0xbf3bfb3b, v2, -v52
	v_fma_f32 v2, 0x3f3bfb3b, v2, -v53
	v_fmamk_f32 v40, v59, 0x3f4a47b2, v60
	v_mul_f32_e32 v58, 0x3f08b237, v22
	v_dual_add_f32 v22, v34, v39 :: v_dual_fmac_f32 v35, 0xbee1c552, v24
	v_fmamk_f32 v34, v54, 0x3f4a47b2, v53
	v_fmamk_f32 v54, v57, 0xbeae86e6, v55
	s_delay_alu instid0(VALU_DEP_3)
	v_dual_add_f32 v28, v28, v30 :: v_dual_fmamk_f32 v39, v39, 0xbf955555, v22
	v_fma_f32 v38, 0x3f3bfb3b, v38, -v51
	v_add_f32_e32 v2, v2, v41
	v_fmamk_f32 v36, v36, 0x3f4a47b2, v51
	v_fmac_f32_e32 v54, 0xbee1c552, v24
	v_fmamk_f32 v24, v44, 0xbf955555, v18
	v_add_f32_e32 v44, v34, v41
	v_add_f32_e32 v34, v26, v39
	;; [unrolled: 1-line block ×3, first 2 shown]
	s_delay_alu instid0(VALU_DEP_4)
	v_dual_add_f32 v38, v38, v39 :: v_dual_add_f32 v39, v40, v24
	v_fmamk_f32 v51, v42, 0xbeae86e6, v58
	v_mul_f32_e32 v64, 0x3f08b237, v66
	v_mul_f32_e32 v66, 0xbf5ff5aa, v46
	v_fma_f32 v53, 0x3eae86e6, v42, -v25
	v_fma_f32 v42, 0x3f3bfb3b, v43, -v60
	v_add_co_u32 v9, vcc_lo, v0, v9
	s_delay_alu instid0(VALU_DEP_4)
	v_fma_f32 v55, 0x3eae86e6, v65, -v66
	v_fma_f32 v56, 0xbf5ff5aa, v46, -v64
	v_fmac_f32_e32 v53, 0xbee1c552, v28
	s_wait_alu 0xfffd
	v_add_co_ci_u32_e32 v10, vcc_lo, v1, v10, vcc_lo
	v_fmac_f32_e32 v55, 0xbee1c552, v23
	v_fmac_f32_e32 v56, 0xbee1c552, v23
	v_mul_f32_e32 v30, 0x3f4a47b2, v59
	v_fmamk_f32 v52, v65, 0xbeae86e6, v64
	s_delay_alu instid0(VALU_DEP_1) | instskip(SKIP_1) | instid1(VALU_DEP_4)
	v_dual_fmac_f32 v51, 0xbee1c552, v28 :: v_dual_fmac_f32 v52, 0xbee1c552, v23
	v_sub_f32_e32 v23, v44, v54
	v_fma_f32 v25, 0xbf3bfb3b, v43, -v30
	v_fma_f32 v30, 0xbf3bfb3b, v45, -v61
	;; [unrolled: 1-line block ×4, first 2 shown]
	v_add_f32_e32 v45, v27, v41
	v_add_f32_e32 v41, v33, v31
	;; [unrolled: 1-line block ×3, first 2 shown]
	v_dual_fmac_f32 v43, 0xbee1c552, v28 :: v_dual_add_f32 v50, v30, v31
	v_add_f32_e32 v57, v32, v31
	v_sub_f32_e32 v25, v45, v35
	v_add_f32_e32 v31, v35, v45
	v_sub_f32_e32 v35, v41, v52
	;; [unrolled: 2-line block ×3, first 2 shown]
	v_dual_add_f32 v30, v29, v38 :: v_dual_add_f32 v33, v54, v44
	v_add_f32_e32 v38, v53, v46
	v_sub_f32_e32 v44, v46, v53
	v_dual_sub_f32 v46, v39, v51 :: v_dual_add_f32 v45, v52, v41
	v_sub_f32_e32 v40, v42, v43
	v_add_f32_e32 v42, v43, v42
	v_add_f32_e32 v43, v55, v50
	v_sub_f32_e32 v41, v57, v56
	v_add_f32_e32 v24, v67, v36
	v_add_f32_e32 v26, v68, v34
	v_sub_f32_e32 v32, v34, v68
	v_sub_f32_e32 v34, v36, v67
	v_dual_add_f32 v36, v51, v39 :: v_dual_add_f32 v39, v56, v57
	v_add_f32_e32 v27, v37, v2
	v_sub_f32_e32 v29, v2, v37
	v_sub_f32_e32 v37, v50, v55
	s_clause 0xd
	global_store_b64 v[0:1], v[17:18], off
	global_store_b64 v[0:1], v[45:46], off offset:2040
	global_store_b64 v[0:1], v[43:44], off offset:4080
	global_store_b64 v[0:1], v[41:42], off offset:6120
	global_store_b64 v[0:1], v[39:40], off offset:8160
	global_store_b64 v[0:1], v[37:38], off offset:10200
	global_store_b64 v[0:1], v[35:36], off offset:12240
	global_store_b64 v[9:10], v[21:22], off offset:952
	global_store_b64 v[9:10], v[33:34], off offset:2992
	global_store_b64 v[9:10], v[31:32], off offset:5032
	global_store_b64 v[9:10], v[29:30], off offset:7072
	global_store_b64 v[9:10], v[27:28], off offset:9112
	global_store_b64 v[9:10], v[25:26], off offset:11152
	global_store_b64 v[9:10], v[23:24], off offset:13192
	s_and_b32 exec_lo, exec_lo, s0
	s_cbranch_execz .LBB0_22
; %bb.21:
	v_subrev_nc_u32_e32 v2, 17, v3
	s_delay_alu instid0(VALU_DEP_1) | instskip(NEXT) | instid1(VALU_DEP_1)
	v_cndmask_b32_e64 v2, v2, v49, s0
	v_mul_i32_i24_e32 v3, 6, v2
	s_delay_alu instid0(VALU_DEP_1) | instskip(NEXT) | instid1(VALU_DEP_1)
	v_lshlrev_b64_e32 v[2:3], 3, v[3:4]
	v_add_co_u32 v2, vcc_lo, s4, v2
	s_wait_alu 0xfffd
	s_delay_alu instid0(VALU_DEP_2)
	v_add_co_ci_u32_e32 v3, vcc_lo, s5, v3, vcc_lo
	s_clause 0x2
	global_load_b128 v[21:24], v[2:3], off offset:1904
	global_load_b128 v[25:28], v[2:3], off offset:1920
	;; [unrolled: 1-line block ×3, first 2 shown]
	s_wait_loadcnt 0x2
	v_dual_mul_f32 v2, v12, v22 :: v_dual_mul_f32 v9, v7, v24
	v_dual_mul_f32 v3, v6, v22 :: v_dual_mul_f32 v4, v13, v24
	s_wait_loadcnt 0x1
	v_dual_mul_f32 v17, v8, v26 :: v_dual_mul_f32 v18, v19, v28
	s_delay_alu instid0(VALU_DEP_3) | instskip(NEXT) | instid1(VALU_DEP_3)
	v_fmac_f32_e32 v2, v6, v21
	v_fma_f32 v3, v12, v21, -v3
	v_mul_f32_e32 v10, v14, v26
	v_fma_f32 v6, v13, v23, -v9
	s_wait_loadcnt 0x0
	v_mul_f32_e32 v26, v16, v30
	v_fmac_f32_e32 v4, v7, v23
	v_fma_f32 v7, v14, v25, -v17
	v_mul_f32_e32 v22, v15, v28
	v_fmac_f32_e32 v18, v15, v27
	v_fma_f32 v12, v20, v29, -v26
	s_delay_alu instid0(VALU_DEP_3) | instskip(NEXT) | instid1(VALU_DEP_2)
	v_fma_f32 v9, v19, v27, -v22
	v_add_f32_e32 v15, v6, v12
	v_mul_f32_e32 v28, v48, v32
	v_sub_f32_e32 v6, v6, v12
	s_delay_alu instid0(VALU_DEP_2) | instskip(NEXT) | instid1(VALU_DEP_1)
	v_fmac_f32_e32 v28, v47, v31
	v_dual_mul_f32 v24, v20, v30 :: v_dual_add_f32 v13, v2, v28
	s_delay_alu instid0(VALU_DEP_1) | instskip(SKIP_2) | instid1(VALU_DEP_2)
	v_fmac_f32_e32 v24, v16, v29
	v_dual_add_f32 v16, v7, v9 :: v_dual_sub_f32 v7, v9, v7
	v_mul_f32_e32 v30, v47, v32
	v_sub_f32_e32 v23, v7, v6
	s_delay_alu instid0(VALU_DEP_1) | instskip(SKIP_1) | instid1(VALU_DEP_4)
	v_dual_mul_f32 v23, 0x3f08b237, v23 :: v_dual_fmac_f32 v10, v8, v25
	v_add_f32_e32 v21, v7, v6
	v_fma_f32 v8, v48, v31, -v30
	s_delay_alu instid0(VALU_DEP_3) | instskip(NEXT) | instid1(VALU_DEP_2)
	v_add_f32_e32 v12, v10, v18
	v_add_f32_e32 v14, v3, v8
	v_sub_f32_e32 v3, v3, v8
	s_delay_alu instid0(VALU_DEP_2) | instskip(NEXT) | instid1(VALU_DEP_1)
	v_dual_add_f32 v8, v4, v24 :: v_dual_add_f32 v17, v15, v14
	v_dual_sub_f32 v6, v6, v3 :: v_dual_add_f32 v9, v8, v13
	v_sub_f32_e32 v19, v15, v14
	v_sub_f32_e32 v7, v3, v7
	s_delay_alu instid0(VALU_DEP_3)
	v_mul_f32_e32 v25, 0xbf5ff5aa, v6
	v_sub_f32_e32 v15, v16, v15
	v_dual_add_f32 v9, v12, v9 :: v_dual_sub_f32 v10, v18, v10
	v_dual_sub_f32 v18, v8, v13 :: v_dual_sub_f32 v13, v13, v12
	v_sub_f32_e32 v4, v4, v24
	v_sub_f32_e32 v8, v12, v8
	v_dual_add_f32 v12, v16, v17 :: v_dual_add_f32 v17, v21, v3
	s_delay_alu instid0(VALU_DEP_4) | instskip(SKIP_1) | instid1(VALU_DEP_3)
	v_dual_sub_f32 v14, v14, v16 :: v_dual_mul_f32 v13, 0x3f4a47b2, v13
	v_dual_sub_f32 v2, v2, v28 :: v_dual_mul_f32 v21, 0x3d64c772, v15
	v_add_f32_e32 v3, v11, v12
	v_add_f32_e32 v20, v10, v4
	s_delay_alu instid0(VALU_DEP_4)
	v_mul_f32_e32 v14, 0x3f4a47b2, v14
	v_sub_f32_e32 v22, v10, v4
	v_sub_f32_e32 v10, v2, v10
	;; [unrolled: 1-line block ×3, first 2 shown]
	v_add_f32_e32 v16, v20, v2
	v_mul_f32_e32 v20, 0x3d64c772, v8
	v_dual_add_f32 v2, v5, v9 :: v_dual_fmamk_f32 v5, v8, 0x3d64c772, v13
	v_fmamk_f32 v8, v15, 0x3d64c772, v14
	v_fma_f32 v15, 0x3f3bfb3b, v19, -v21
	v_fma_f32 v14, 0xbf3bfb3b, v19, -v14
	v_fmamk_f32 v19, v7, 0xbeae86e6, v23
	v_fma_f32 v21, 0xbf5ff5aa, v6, -v23
	v_fma_f32 v23, 0x3eae86e6, v7, -v25
	v_fmamk_f32 v6, v12, 0xbf955555, v3
	v_mul_f32_e32 v24, 0xbf5ff5aa, v4
	v_fmac_f32_e32 v19, 0xbee1c552, v17
	v_fmac_f32_e32 v21, 0xbee1c552, v17
	;; [unrolled: 1-line block ×3, first 2 shown]
	v_add_f32_e32 v17, v8, v6
	v_mul_f32_e32 v22, 0x3f08b237, v22
	v_fma_f32 v11, 0x3f3bfb3b, v18, -v20
	v_fma_f32 v13, 0xbf3bfb3b, v18, -v13
	s_delay_alu instid0(VALU_DEP_3) | instskip(SKIP_3) | instid1(VALU_DEP_2)
	v_fmamk_f32 v18, v10, 0xbeae86e6, v22
	v_fma_f32 v20, 0xbf5ff5aa, v4, -v22
	v_fma_f32 v22, 0x3eae86e6, v10, -v24
	v_fmamk_f32 v4, v9, 0xbf955555, v2
	v_fmac_f32_e32 v22, 0xbee1c552, v16
	s_delay_alu instid0(VALU_DEP_2) | instskip(SKIP_2) | instid1(VALU_DEP_3)
	v_dual_add_f32 v12, v13, v4 :: v_dual_add_f32 v13, v14, v6
	v_add_f32_e32 v10, v11, v4
	v_add_f32_e32 v11, v15, v6
	v_dual_add_f32 v6, v23, v12 :: v_dual_sub_f32 v7, v13, v22
	v_dual_add_f32 v13, v22, v13 :: v_dual_fmac_f32 v18, 0xbee1c552, v16
	v_fmac_f32_e32 v20, 0xbee1c552, v16
	v_add_f32_e32 v16, v5, v4
	v_sub_f32_e32 v8, v10, v21
	v_add_f32_e32 v10, v21, v10
	v_sub_f32_e32 v5, v17, v18
	s_delay_alu instid0(VALU_DEP_4)
	v_dual_add_f32 v9, v20, v11 :: v_dual_add_f32 v4, v19, v16
	v_dual_sub_f32 v11, v11, v20 :: v_dual_sub_f32 v12, v12, v23
	v_dual_sub_f32 v14, v16, v19 :: v_dual_add_f32 v15, v18, v17
	s_clause 0x6
	global_store_b64 v[0:1], v[2:3], off offset:1904
	global_store_b64 v[0:1], v[4:5], off offset:3944
	;; [unrolled: 1-line block ×7, first 2 shown]
.LBB0_22:
	s_nop 0
	s_sendmsg sendmsg(MSG_DEALLOC_VGPRS)
	s_endpgm
	.section	.rodata,"a",@progbits
	.p2align	6, 0x0
	.amdhsa_kernel fft_rtc_back_len1785_factors_17_3_5_7_wgs_119_tpt_119_halfLds_sp_op_CI_CI_unitstride_sbrr_dirReg
		.amdhsa_group_segment_fixed_size 0
		.amdhsa_private_segment_fixed_size 0
		.amdhsa_kernarg_size 104
		.amdhsa_user_sgpr_count 2
		.amdhsa_user_sgpr_dispatch_ptr 0
		.amdhsa_user_sgpr_queue_ptr 0
		.amdhsa_user_sgpr_kernarg_segment_ptr 1
		.amdhsa_user_sgpr_dispatch_id 0
		.amdhsa_user_sgpr_private_segment_size 0
		.amdhsa_wavefront_size32 1
		.amdhsa_uses_dynamic_stack 0
		.amdhsa_enable_private_segment 0
		.amdhsa_system_sgpr_workgroup_id_x 1
		.amdhsa_system_sgpr_workgroup_id_y 0
		.amdhsa_system_sgpr_workgroup_id_z 0
		.amdhsa_system_sgpr_workgroup_info 0
		.amdhsa_system_vgpr_workitem_id 0
		.amdhsa_next_free_vgpr 99
		.amdhsa_next_free_sgpr 39
		.amdhsa_reserve_vcc 1
		.amdhsa_float_round_mode_32 0
		.amdhsa_float_round_mode_16_64 0
		.amdhsa_float_denorm_mode_32 3
		.amdhsa_float_denorm_mode_16_64 3
		.amdhsa_fp16_overflow 0
		.amdhsa_workgroup_processor_mode 1
		.amdhsa_memory_ordered 1
		.amdhsa_forward_progress 0
		.amdhsa_round_robin_scheduling 0
		.amdhsa_exception_fp_ieee_invalid_op 0
		.amdhsa_exception_fp_denorm_src 0
		.amdhsa_exception_fp_ieee_div_zero 0
		.amdhsa_exception_fp_ieee_overflow 0
		.amdhsa_exception_fp_ieee_underflow 0
		.amdhsa_exception_fp_ieee_inexact 0
		.amdhsa_exception_int_div_zero 0
	.end_amdhsa_kernel
	.text
.Lfunc_end0:
	.size	fft_rtc_back_len1785_factors_17_3_5_7_wgs_119_tpt_119_halfLds_sp_op_CI_CI_unitstride_sbrr_dirReg, .Lfunc_end0-fft_rtc_back_len1785_factors_17_3_5_7_wgs_119_tpt_119_halfLds_sp_op_CI_CI_unitstride_sbrr_dirReg
                                        ; -- End function
	.section	.AMDGPU.csdata,"",@progbits
; Kernel info:
; codeLenInByte = 13764
; NumSgprs: 41
; NumVgprs: 99
; ScratchSize: 0
; MemoryBound: 0
; FloatMode: 240
; IeeeMode: 1
; LDSByteSize: 0 bytes/workgroup (compile time only)
; SGPRBlocks: 5
; VGPRBlocks: 12
; NumSGPRsForWavesPerEU: 41
; NumVGPRsForWavesPerEU: 99
; Occupancy: 12
; WaveLimiterHint : 1
; COMPUTE_PGM_RSRC2:SCRATCH_EN: 0
; COMPUTE_PGM_RSRC2:USER_SGPR: 2
; COMPUTE_PGM_RSRC2:TRAP_HANDLER: 0
; COMPUTE_PGM_RSRC2:TGID_X_EN: 1
; COMPUTE_PGM_RSRC2:TGID_Y_EN: 0
; COMPUTE_PGM_RSRC2:TGID_Z_EN: 0
; COMPUTE_PGM_RSRC2:TIDIG_COMP_CNT: 0
	.text
	.p2alignl 7, 3214868480
	.fill 96, 4, 3214868480
	.type	__hip_cuid_42fffdf42f087e74,@object ; @__hip_cuid_42fffdf42f087e74
	.section	.bss,"aw",@nobits
	.globl	__hip_cuid_42fffdf42f087e74
__hip_cuid_42fffdf42f087e74:
	.byte	0                               ; 0x0
	.size	__hip_cuid_42fffdf42f087e74, 1

	.ident	"AMD clang version 19.0.0git (https://github.com/RadeonOpenCompute/llvm-project roc-6.4.0 25133 c7fe45cf4b819c5991fe208aaa96edf142730f1d)"
	.section	".note.GNU-stack","",@progbits
	.addrsig
	.addrsig_sym __hip_cuid_42fffdf42f087e74
	.amdgpu_metadata
---
amdhsa.kernels:
  - .args:
      - .actual_access:  read_only
        .address_space:  global
        .offset:         0
        .size:           8
        .value_kind:     global_buffer
      - .offset:         8
        .size:           8
        .value_kind:     by_value
      - .actual_access:  read_only
        .address_space:  global
        .offset:         16
        .size:           8
        .value_kind:     global_buffer
      - .actual_access:  read_only
        .address_space:  global
        .offset:         24
        .size:           8
        .value_kind:     global_buffer
      - .actual_access:  read_only
        .address_space:  global
        .offset:         32
        .size:           8
        .value_kind:     global_buffer
      - .offset:         40
        .size:           8
        .value_kind:     by_value
      - .actual_access:  read_only
        .address_space:  global
        .offset:         48
        .size:           8
        .value_kind:     global_buffer
      - .actual_access:  read_only
        .address_space:  global
        .offset:         56
        .size:           8
        .value_kind:     global_buffer
      - .offset:         64
        .size:           4
        .value_kind:     by_value
      - .actual_access:  read_only
        .address_space:  global
        .offset:         72
        .size:           8
        .value_kind:     global_buffer
      - .actual_access:  read_only
        .address_space:  global
        .offset:         80
        .size:           8
        .value_kind:     global_buffer
      - .actual_access:  read_only
        .address_space:  global
        .offset:         88
        .size:           8
        .value_kind:     global_buffer
      - .actual_access:  write_only
        .address_space:  global
        .offset:         96
        .size:           8
        .value_kind:     global_buffer
    .group_segment_fixed_size: 0
    .kernarg_segment_align: 8
    .kernarg_segment_size: 104
    .language:       OpenCL C
    .language_version:
      - 2
      - 0
    .max_flat_workgroup_size: 119
    .name:           fft_rtc_back_len1785_factors_17_3_5_7_wgs_119_tpt_119_halfLds_sp_op_CI_CI_unitstride_sbrr_dirReg
    .private_segment_fixed_size: 0
    .sgpr_count:     41
    .sgpr_spill_count: 0
    .symbol:         fft_rtc_back_len1785_factors_17_3_5_7_wgs_119_tpt_119_halfLds_sp_op_CI_CI_unitstride_sbrr_dirReg.kd
    .uniform_work_group_size: 1
    .uses_dynamic_stack: false
    .vgpr_count:     99
    .vgpr_spill_count: 0
    .wavefront_size: 32
    .workgroup_processor_mode: 1
amdhsa.target:   amdgcn-amd-amdhsa--gfx1201
amdhsa.version:
  - 1
  - 2
...

	.end_amdgpu_metadata
